;; amdgpu-corpus repo=ROCm/Tensile kind=harvested arch=n/a opt=n/a

/******************************************/
/* Function Prefix                        */
/******************************************/



/******************************************/
/* Begin Kernel                           */
/******************************************/

// Component.Signature.SignatureDefault
.amdgcn_target "amdgcn-amd-amdhsa--gfx90a"
.text
.protected Cijk_Alik_Bljk_DB_GB_MT128x96x16_MI16x16x4x1_SN_1LDSB1_APM1_AF0EM1_AF1EM1_AMAS3_ASGT_ASLT_ASAE01_ASCE01_ASEM1_BL0_BS0_CLR0_DTLA0_DTLB0_DTVA0_DVO0_EPS0_FL0_GLVWA2_GLVWB2_GRVW2_GSU1_GSUASB_GLS0_ISA90a_IU1_K1_KLA_LBSPPA0_LBSPPB0_LPA2_LPB2_LDL1_LRVW1_LDW0_FMA_MIAV1_MMFGLC_NTA0_NTB0_NTC3_NTD3_NEPBS0_NLCA1_NLCB1_ONLL1_OPLV0_PK0_PAP0_PGR2_PLR5_SIA3_SS1_SU0_SUM0_SUS0_SCIUI1_SPO1_SRVW0_SSO8_SVW2_SNLL0_TT2_96_TLDS0_UMLDSA0_UMLDSB0_USFGROn1_VAW1_VSn1_VW2_VWB1_VFLRP0_WSGRA0_WSGRB0_WG64_4_1_WGM8
.globl Cijk_Alik_Bljk_DB_GB_MT128x96x16_MI16x16x4x1_SN_1LDSB1_APM1_AF0EM1_AF1EM1_AMAS3_ASGT_ASLT_ASAE01_ASCE01_ASEM1_BL0_BS0_CLR0_DTLA0_DTLB0_DTVA0_DVO0_EPS0_FL0_GLVWA2_GLVWB2_GRVW2_GSU1_GSUASB_GLS0_ISA90a_IU1_K1_KLA_LBSPPA0_LBSPPB0_LPA2_LPB2_LDL1_LRVW1_LDW0_FMA_MIAV1_MMFGLC_NTA0_NTB0_NTC3_NTD3_NEPBS0_NLCA1_NLCB1_ONLL1_OPLV0_PK0_PAP0_PGR2_PLR5_SIA3_SS1_SU0_SUM0_SUS0_SCIUI1_SPO1_SRVW0_SSO8_SVW2_SNLL0_TT2_96_TLDS0_UMLDSA0_UMLDSB0_USFGROn1_VAW1_VSn1_VW2_VWB1_VFLRP0_WSGRA0_WSGRB0_WG64_4_1_WGM8
.p2align 8
.type Cijk_Alik_Bljk_DB_GB_MT128x96x16_MI16x16x4x1_SN_1LDSB1_APM1_AF0EM1_AF1EM1_AMAS3_ASGT_ASLT_ASAE01_ASCE01_ASEM1_BL0_BS0_CLR0_DTLA0_DTLB0_DTVA0_DVO0_EPS0_FL0_GLVWA2_GLVWB2_GRVW2_GSU1_GSUASB_GLS0_ISA90a_IU1_K1_KLA_LBSPPA0_LBSPPB0_LPA2_LPB2_LDL1_LRVW1_LDW0_FMA_MIAV1_MMFGLC_NTA0_NTB0_NTC3_NTD3_NEPBS0_NLCA1_NLCB1_ONLL1_OPLV0_PK0_PAP0_PGR2_PLR5_SIA3_SS1_SU0_SUM0_SUS0_SCIUI1_SPO1_SRVW0_SSO8_SVW2_SNLL0_TT2_96_TLDS0_UMLDSA0_UMLDSB0_USFGROn1_VAW1_VSn1_VW2_VWB1_VFLRP0_WSGRA0_WSGRB0_WG64_4_1_WGM8,@function
.section .rodata,#alloc
.p2align 6
.amdhsa_kernel Cijk_Alik_Bljk_DB_GB_MT128x96x16_MI16x16x4x1_SN_1LDSB1_APM1_AF0EM1_AF1EM1_AMAS3_ASGT_ASLT_ASAE01_ASCE01_ASEM1_BL0_BS0_CLR0_DTLA0_DTLB0_DTVA0_DVO0_EPS0_FL0_GLVWA2_GLVWB2_GRVW2_GSU1_GSUASB_GLS0_ISA90a_IU1_K1_KLA_LBSPPA0_LBSPPB0_LPA2_LPB2_LDL1_LRVW1_LDW0_FMA_MIAV1_MMFGLC_NTA0_NTB0_NTC3_NTD3_NEPBS0_NLCA1_NLCB1_ONLL1_OPLV0_PK0_PAP0_PGR2_PLR5_SIA3_SS1_SU0_SUM0_SUS0_SCIUI1_SPO1_SRVW0_SSO8_SVW2_SNLL0_TT2_96_TLDS0_UMLDSA0_UMLDSB0_USFGROn1_VAW1_VSn1_VW2_VWB1_VFLRP0_WSGRA0_WSGRB0_WG64_4_1_WGM8
  .amdhsa_user_sgpr_kernarg_segment_ptr 1
  .amdhsa_user_sgpr_kernarg_preload_offset 0
  .amdhsa_user_sgpr_kernarg_preload_length 0
  .amdhsa_user_sgpr_count 2
  .amdhsa_accum_offset 256 // accvgpr offset
  .amdhsa_next_free_vgpr 256 // vgprs
  .amdhsa_next_free_sgpr 102 // sgprs
  .amdhsa_group_segment_fixed_size 29184 // lds bytes
  .amdhsa_private_segment_fixed_size 0
  .amdhsa_system_sgpr_workgroup_id_x 1
  .amdhsa_system_sgpr_workgroup_id_y 1
  .amdhsa_system_sgpr_workgroup_id_z 1
  .amdhsa_system_vgpr_workitem_id 0
  .amdhsa_float_denorm_mode_32 3
  .amdhsa_float_denorm_mode_16_64 3
.end_amdhsa_kernel
.text

/******************************************/
/* Optimizations and Config:              */
/******************************************/
/* ThreadTile= 8 x 6 */
/* SubGroup= 16 x 16 */
/* VectorWidthA=2 */
/* VectorWidthB=1 */
/* GlobalLoadVectorWidthA=2, GlobalLoadVectorWidthB=2 */
/* DirectToLdsA=False */
/* DirectToLdsB=False */
/* UseSgprForGRO=False */
.amdgpu_metadata
---
amdhsa.version:
  - 1
  - 1
amdhsa.target: amdgcn-amd-amdhsa--gfx90a
amdhsa.kernels:
  - .name: Cijk_Alik_Bljk_DB_GB_MT128x96x16_MI16x16x4x1_SN_1LDSB1_APM1_AF0EM1_AF1EM1_AMAS3_ASGT_ASLT_ASAE01_ASCE01_ASEM1_BL0_BS0_CLR0_DTLA0_DTLB0_DTVA0_DVO0_EPS0_FL0_GLVWA2_GLVWB2_GRVW2_GSU1_GSUASB_GLS0_ISA90a_IU1_K1_KLA_LBSPPA0_LBSPPB0_LPA2_LPB2_LDL1_LRVW1_LDW0_FMA_MIAV1_MMFGLC_NTA0_NTB0_NTC3_NTD3_NEPBS0_NLCA1_NLCB1_ONLL1_OPLV0_PK0_PAP0_PGR2_PLR5_SIA3_SS1_SU0_SUM0_SUS0_SCIUI1_SPO1_SRVW0_SSO8_SVW2_SNLL0_TT2_96_TLDS0_UMLDSA0_UMLDSB0_USFGROn1_VAW1_VSn1_VW2_VWB1_VFLRP0_WSGRA0_WSGRB0_WG64_4_1_WGM8
    .symbol: 'Cijk_Alik_Bljk_DB_GB_MT128x96x16_MI16x16x4x1_SN_1LDSB1_APM1_AF0EM1_AF1EM1_AMAS3_ASGT_ASLT_ASAE01_ASCE01_ASEM1_BL0_BS0_CLR0_DTLA0_DTLB0_DTVA0_DVO0_EPS0_FL0_GLVWA2_GLVWB2_GRVW2_GSU1_GSUASB_GLS0_ISA90a_IU1_K1_KLA_LBSPPA0_LBSPPB0_LPA2_LPB2_LDL1_LRVW1_LDW0_FMA_MIAV1_MMFGLC_NTA0_NTB0_NTC3_NTD3_NEPBS0_NLCA1_NLCB1_ONLL1_OPLV0_PK0_PAP0_PGR2_PLR5_SIA3_SS1_SU0_SUM0_SUS0_SCIUI1_SPO1_SRVW0_SSO8_SVW2_SNLL0_TT2_96_TLDS0_UMLDSA0_UMLDSB0_USFGROn1_VAW1_VSn1_VW2_VWB1_VFLRP0_WSGRA0_WSGRB0_WG64_4_1_WGM8.kd'
    .language:                   OpenCL C
    .language_version:
      - 2
      - 0
    .args:
      - .name:            Tensor2dSizeA
        .size:            8
        .offset:          0
        .value_kind:      by_value
        .value_type:      u64
      - .name:            Tensor2dSizeB
        .size:            8
        .offset:          8
        .value_kind:      by_value
        .value_type:      u64
      - .name:            AddressD
        .size:            8
        .offset:          16
        .value_kind:      by_value
        .value_type:      u64
      - .name:            AddressC
        .size:            8
        .offset:          24
        .value_kind:      by_value
        .value_type:      u64
      - .name:            AddressA
        .size:            8
        .offset:          32
        .value_kind:      by_value
        .value_type:      u64
      - .name:            AddressB
        .size:            8
        .offset:          40
        .value_kind:      by_value
        .value_type:      u64
      - .name:            OffsetD
        .size:            8
        .offset:          48
        .value_kind:      by_value
        .value_type:      u64
      - .name:            OffsetC
        .size:            8
        .offset:          56
        .value_kind:      by_value
        .value_type:      u64
      - .name:            OffsetA
        .size:            8
        .offset:          64
        .value_kind:      by_value
        .value_type:      u64
      - .name:            OffsetB
        .size:            8
        .offset:          72
        .value_kind:      by_value
        .value_type:      u64
      - .name:            Alpha
        .size:            8
        .offset:          80
        .value_kind:      by_value
        .value_type:      u64
      - .name:            Beta
        .size:            8
        .offset:          88
        .value_kind:      by_value
        .value_type:      u64
      - .name:            StridesD
        .size:            8
        .offset:          96
        .value_kind:      by_value
        .value_type:      u64
      - .name:            StridesC
        .size:            8
        .offset:          104
        .value_kind:      by_value
        .value_type:      u64
      - .name:            StridesA
        .size:            8
        .offset:          112
        .value_kind:      by_value
        .value_type:      u64
      - .name:            StridesB
        .size:            8
        .offset:          120
        .value_kind:      by_value
        .value_type:      u64
      - .name:            SizesFree
        .size:            12
        .offset:          128
        .value_kind:      by_value
        .value_type:      u96
      - .name:            SizesSum
        .size:            4
        .offset:          140
        .value_kind:      by_value
        .value_type:      u32
      - .name:            NumWorkGroups0
        .size:            4
        .offset:          144
        .value_kind:      by_value
        .value_type:      u32
      - .name:            NumWorkGroups1
        .size:            4
        .offset:          148
        .value_kind:      by_value
        .value_type:      u32
      - .name:            NumFullBlocks
        .size:            4
        .offset:          152
        .value_kind:      by_value
        .value_type:      u32
      - .name:            WgmRemainder1
        .size:            4
        .offset:          156
        .value_kind:      by_value
        .value_type:      u32
      - .name:            MagicNumberWgmRemainder1
        .size:            4
        .offset:          160
        .value_kind:      by_value
        .value_type:      u32
    .group_segment_fixed_size:   29184
    .kernarg_segment_align:      8
    .kernarg_segment_size:       168
    .max_flat_workgroup_size:    256
    .private_segment_fixed_size: 0
    .sgpr_count:                 102
    .sgpr_spill_count:           0
    .vgpr_count:                 256
    .vgpr_spill_count:           0
    .wavefront_size:             64
...
.end_amdgpu_metadata
Cijk_Alik_Bljk_DB_GB_MT128x96x16_MI16x16x4x1_SN_1LDSB1_APM1_AF0EM1_AF1EM1_AMAS3_ASGT_ASLT_ASAE01_ASCE01_ASEM1_BL0_BS0_CLR0_DTLA0_DTLB0_DTVA0_DVO0_EPS0_FL0_GLVWA2_GLVWB2_GRVW2_GSU1_GSUASB_GLS0_ISA90a_IU1_K1_KLA_LBSPPA0_LBSPPB0_LPA2_LPB2_LDL1_LRVW1_LDW0_FMA_MIAV1_MMFGLC_NTA0_NTB0_NTC3_NTD3_NEPBS0_NLCA1_NLCB1_ONLL1_OPLV0_PK0_PAP0_PGR2_PLR5_SIA3_SS1_SU0_SUM0_SUS0_SCIUI1_SPO1_SRVW0_SSO8_SVW2_SNLL0_TT2_96_TLDS0_UMLDSA0_UMLDSB0_USFGROn1_VAW1_VSn1_VW2_VWB1_VFLRP0_WSGRA0_WSGRB0_WG64_4_1_WGM8:

/******************************************/
/* Asm syntax workarounds                 */
/******************************************/
.macro _v_add_co_u32 dst:req, cc:req, src0:req, src1:req, dpp=
   v_add_co_u32 \dst, \cc, \src0, \src1 \dpp
.endm

.macro _v_add_u32 dst:req, src0:req, src1:req, dpp=
   v_add_u32 \dst, \src0, \src1 \dpp
.endm

.macro _v_add_i32 dst:req, src0:req, src1:req, dpp=
   v_add_i32 \dst, \src0, \src1 \dpp
.endm

.macro _v_addc_co_u32 dst:req, ccOut:req, src0:req, ccIn:req, src1:req, dpp=
   v_addc_co_u32 \dst, \ccOut, \src0, \ccIn, \src1 \dpp
.endm

.macro _v_sub_co_u32 dst:req, cc:req, src0:req, src1:req, dpp=
   v_sub_co_u32 \dst, \cc, \src0, \src1 \dpp
.endm

.macro _v_sub_u32 dst:req, src0:req, src1:req, dpp=
   v_sub_u32 \dst, \src0, \src1 \dpp
.endm

.macro _v_sub_i32 dst:req, src0:req, src1:req, dpp=
   v_sub_i32 \dst, \src0, \src1 \dpp
.endm

.macro _v_add_lshl_u32 dst:req, src0:req, src1:req, shiftCnt:req
    v_add_lshl_u32 \dst, \src0, \src1, \shiftCnt
.endm

.macro _v_lshl_add_u32 dst:req, src0:req, src1:req, shiftCnt:req
    v_lshl_add_u32 \dst, \src0, \src1, \shiftCnt
.endm

.macro _v_lshl_or_b32 dst:req, src0:req, shiftCnt:req, src1:req
    v_lshl_or_b32 \dst, \src0, \shiftCnt, \src1
.endm

.macro _v_dot2acc_f32_f16 dst, src0, src1
v_dot2c_f32_f16 \dst, \src0, \src1
.endm

.macro _v_cmpx_lt_i16 dst, src0, src1=
   v_cmpx_lt_i16 \dst, \src0, \src1 
.endm

.macro _v_cmpx_lt_i32 dst, src0, src1=
   v_cmpx_lt_i32 \dst, \src0, \src1 
.endm

.macro _v_cmpx_lt_i64 dst, src0, src1=
   v_cmpx_lt_i64 \dst, \src0, \src1 
.endm

.macro _v_cmpx_lt_u16 dst, src0, src1=
   v_cmpx_lt_u16 \dst, \src0, \src1 
.endm

.macro _v_cmpx_lt_u32 dst, src0, src1=
   v_cmpx_lt_u32 \dst, \src0, \src1 
.endm

.macro _v_cmpx_lt_u64 dst, src0, src1=
   v_cmpx_lt_u64 \dst, \src0, \src1 
.endm

.macro _v_cmpx_eq_i16 dst, src0, src1=
   v_cmpx_eq_i16 \dst, \src0, \src1 
.endm

.macro _v_cmpx_eq_i32 dst, src0, src1=
   v_cmpx_eq_i32 \dst, \src0, \src1 
.endm

.macro _v_cmpx_eq_i64 dst, src0, src1=
   v_cmpx_eq_i64 \dst, \src0, \src1 
.endm

.macro _v_cmpx_eq_u16 dst, src0, src1=
   v_cmpx_eq_u16 \dst, \src0, \src1 
.endm

.macro _v_cmpx_eq_u32 dst, src0, src1=
   v_cmpx_eq_u32 \dst, \src0, \src1 
.endm

.macro _v_cmpx_eq_u64 dst, src0, src1=
   v_cmpx_eq_u64 \dst, \src0, \src1 
.endm

.macro _v_cmpx_le_i16 dst, src0, src1=
   v_cmpx_le_i16 \dst, \src0, \src1 
.endm

.macro _v_cmpx_le_i32 dst, src0, src1=
   v_cmpx_le_i32 \dst, \src0, \src1 
.endm

.macro _v_cmpx_le_i64 dst, src0, src1=
   v_cmpx_le_i64 \dst, \src0, \src1 
.endm

.macro _v_cmpx_le_u16 dst, src0, src1=
   v_cmpx_le_u16 \dst, \src0, \src1 
.endm

.macro _v_cmpx_le_u32 dst, src0, src1=
   v_cmpx_le_u32 \dst, \src0, \src1 
.endm

.macro _v_cmpx_le_u64 dst, src0, src1=
   v_cmpx_le_u64 \dst, \src0, \src1 
.endm

.macro _v_cmpx_gt_i16 dst, src0, src1=
   v_cmpx_gt_i16 \dst, \src0, \src1 
.endm

.macro _v_cmpx_gt_i32 dst, src0, src1=
   v_cmpx_gt_i32 \dst, \src0, \src1 
.endm

.macro _v_cmpx_gt_i64 dst, src0, src1=
   v_cmpx_gt_i64 \dst, \src0, \src1 
.endm

.macro _v_cmpx_gt_u16 dst, src0, src1=
   v_cmpx_gt_u16 \dst, \src0, \src1 
.endm

.macro _v_cmpx_gt_u32 dst, src0, src1=
   v_cmpx_gt_u32 \dst, \src0, \src1 
.endm

.macro _v_cmpx_gt_u64 dst, src0, src1=
   v_cmpx_gt_u64 \dst, \src0, \src1 
.endm

.macro _v_cmpx_ne_i16 dst, src0, src1=
   v_cmpx_ne_i16 \dst, \src0, \src1 
.endm

.macro _v_cmpx_ne_i32 dst, src0, src1=
   v_cmpx_ne_i32 \dst, \src0, \src1 
.endm

.macro _v_cmpx_ne_i64 dst, src0, src1=
   v_cmpx_ne_i64 \dst, \src0, \src1 
.endm

.macro _v_cmpx_ne_u16 dst, src0, src1=
   v_cmpx_ne_u16 \dst, \src0, \src1 
.endm

.macro _v_cmpx_ne_u32 dst, src0, src1=
   v_cmpx_ne_u32 \dst, \src0, \src1 
.endm

.macro _v_cmpx_ne_u64 dst, src0, src1=
   v_cmpx_ne_u64 \dst, \src0, \src1 
.endm

.macro _v_cmpx_lg_i16 dst, src0, src1=
   v_cmpx_lg_i16 \dst, \src0, \src1 
.endm

.macro _v_cmpx_lg_i32 dst, src0, src1=
   v_cmpx_lg_i32 \dst, \src0, \src1 
.endm

.macro _v_cmpx_lg_i64 dst, src0, src1=
   v_cmpx_lg_i64 \dst, \src0, \src1 
.endm

.macro _v_cmpx_lg_u16 dst, src0, src1=
   v_cmpx_lg_u16 \dst, \src0, \src1 
.endm

.macro _v_cmpx_lg_u32 dst, src0, src1=
   v_cmpx_lg_u32 \dst, \src0, \src1 
.endm

.macro _v_cmpx_lg_u64 dst, src0, src1=
   v_cmpx_lg_u64 \dst, \src0, \src1 
.endm

.macro _v_cmpx_ge_i16 dst, src0, src1=
   v_cmpx_ge_i16 \dst, \src0, \src1 
.endm

.macro _v_cmpx_ge_i32 dst, src0, src1=
   v_cmpx_ge_i32 \dst, \src0, \src1 
.endm

.macro _v_cmpx_ge_i64 dst, src0, src1=
   v_cmpx_ge_i64 \dst, \src0, \src1 
.endm

.macro _v_cmpx_ge_u16 dst, src0, src1=
   v_cmpx_ge_u16 \dst, \src0, \src1 
.endm

.macro _v_cmpx_ge_u32 dst, src0, src1=
   v_cmpx_ge_u32 \dst, \src0, \src1 
.endm

.macro _v_cmpx_ge_u64 dst, src0, src1=
   v_cmpx_ge_u64 \dst, \src0, \src1 
.endm

.macro _v_cmpx_o_i16 dst, src0, src1=
   v_cmpx_o_i16 \dst, \src0, \src1 
.endm

.macro _v_cmpx_o_i32 dst, src0, src1=
   v_cmpx_o_i32 \dst, \src0, \src1 
.endm

.macro _v_cmpx_o_i64 dst, src0, src1=
   v_cmpx_o_i64 \dst, \src0, \src1 
.endm

.macro _v_cmpx_o_u16 dst, src0, src1=
   v_cmpx_o_u16 \dst, \src0, \src1 
.endm

.macro _v_cmpx_o_u32 dst, src0, src1=
   v_cmpx_o_u32 \dst, \src0, \src1 
.endm

.macro _v_cmpx_o_u64 dst, src0, src1=
   v_cmpx_o_u64 \dst, \src0, \src1 
.endm

.macro _v_cmpx_u_i16 dst, src0, src1=
   v_cmpx_u_i16 \dst, \src0, \src1 
.endm

.macro _v_cmpx_u_i32 dst, src0, src1=
   v_cmpx_u_i32 \dst, \src0, \src1 
.endm

.macro _v_cmpx_u_i64 dst, src0, src1=
   v_cmpx_u_i64 \dst, \src0, \src1 
.endm

.macro _v_cmpx_u_u16 dst, src0, src1=
   v_cmpx_u_u16 \dst, \src0, \src1 
.endm

.macro _v_cmpx_u_u32 dst, src0, src1=
   v_cmpx_u_u32 \dst, \src0, \src1 
.endm

.macro _v_cmpx_u_u64 dst, src0, src1=
   v_cmpx_u_u64 \dst, \src0, \src1 
.endm
.macro _v_mac_f32 c:req, a:req, b:req
    v_fmac_f32 \c, \a, \b
.endmacro

/* scale global load macros */
.macro _s_load_b32 dst base offset
    s_load_dword \dst \base \offset
.endm

.macro _s_load_b64 dst base offset
    s_load_dwordx2 \dst \base \offset
.endm

.macro _s_load_b128 dst base offset
    s_load_dwordx4 \dst \base \offset
.endm

.macro _s_load_b256 dst base offset
    s_load_dwordx8 \dst \base \offset
.endm

.macro _s_load_b512 dst base offset
    s_load_dwordx16 \dst \base \offset
.endm


/* ds operation macros */
.macro _ds_load_u8 dst src offset
    ds_read_u8 \dst \src \offset
.endm

.macro _ds_load_u8_d16_hi dst src offset
    ds_read_u8_d16_hi \dst \src \offset
.endm

.macro _ds_load_u16 dst src offset
    ds_read_u16 \dst \src \offset
.endm

.macro _ds_load_u16_d16_hi dst src offset
    ds_read_u16_d16_hi \dst \src \offset
.endm

.macro _ds_load_b32 dst src offset
    ds_read_b32 \dst \src \offset
.endm

.macro _ds_load_b64 dst src offset
    ds_read_b64 \dst \src \offset
.endm

.macro _ds_load_b128 dst src offset
    ds_read_b128 \dst \src \offset
.endm

.macro _ds_store_b8 dst src offset
    ds_write_b8 \dst \src \offset
.endm

.macro _ds_store_b8_d16_hi dst src offset
    ds_write_b8_d16_hi \dst \src \offset
.endm

.macro _ds_store_b16 dst src offset
    ds_write_b16 \dst \src \offset
.endm

.macro _ds_store_b16_d16_hi dst src offset
    ds_write_b16_d16_hi \dst \src \offset
.endm

.macro _ds_store_b32 dst src offset
    ds_write_b32 \dst \src \offset
.endm

.macro _ds_store_b64 dst src offset
    ds_write_b64 \dst \src \offset
.endm

.macro _ds_store_b128 dst src offset
    ds_write_b128 \dst \src \offset
.endm

.macro _ds_load2_b32 dst src offset1 offset2
    ds_read2_b32 \dst \src \offset1 \offset2
.endm

.macro _ds_load2_b64 dst src offset1 offset2
    ds_read2_b64 \dst \src \offset1 \offset2
.endm

.macro _ds_store2_b32 dst src offset1 offset2
    ds_write2_b32 \dst \src \offset1 \offset2
.endm

.macro _ds_store2_b64 dst src offset1 offset2
    ds_write2_b64 \dst \src \offset1 \offset2
.endm


/* buffer memory operation macros */
.macro _buffer_load_b32 dst voffset base soffset offen ioffset md0 md1 md2
    buffer_load_dword \dst \voffset \base \soffset \offen \ioffset \md0 \md1 \md2
.endm

.macro _buffer_load_b64 dst voffset base soffset offen ioffset md0 md1 md2
    buffer_load_dwordx2 \dst \voffset \base \soffset \offen \ioffset \md0 \md1 \md2
.endm

.macro _buffer_load_b96 dst voffset base soffset offen ioffset md0 md1 md2
    buffer_load_dwordx3 \dst \voffset \base \soffset \offen \ioffset \md0 \md1 \md2
.endm

.macro _buffer_load_b128 dst voffset base soffset offen ioffset md0 md1 md2
    buffer_load_dwordx4 \dst \voffset \base \soffset \offen \ioffset \md0 \md1 \md2
.endm

.macro _buffer_load_d16_b16 dst voffset base soffset offen ioffset md0 md1 md2
    buffer_load_short_d16 \dst \voffset \base \soffset \offen \ioffset \md0 \md1 \md2
.endm

.macro _buffer_load_d16_hi_b16 dst voffset base soffset offen ioffset md0 md1 md2
    buffer_load_short_d16_hi \dst \voffset \base \soffset \offen \ioffset \md0 \md1 \md2
.endm

.macro _buffer_load_d16_u8 dst voffset base soffset offen ioffset md0 md1 md2
    buffer_load_ubyte_d16 \dst \voffset \base \soffset \offen \ioffset \md0 \md1 \md2
.endm

.macro _buffer_load_d16_hi_u8 dst voffset base soffset offen ioffset md0 md1 md2
    buffer_load_ubyte_d16_hi \dst \voffset \base \soffset \offen \ioffset \md0 \md1 \md2
.endm

.macro _buffer_load_u16 dst voffset base soffset offen ioffset md0 md1 md2
    buffer_load_ushort \dst \voffset \base \soffset \offen \ioffset \md0 \md1 \md2
.endm

.macro _buffer_load_b32_dtl voffset base soffset offen ioffset md0 md1 md2
    buffer_load_dword \voffset \base \soffset \offen \ioffset \md0 \md1 \md2
.endm

.macro _buffer_load_b64_dtl voffset base soffset offen ioffset md0 md1 md2
    buffer_load_dwordx2 \voffset \base \soffset \offen \ioffset \md0 \md1 \md2
.endm

.macro _buffer_load_b128_dtl voffset base soffset offen ioffset md0 md1 md2
    buffer_load_dwordx4 \voffset \base \soffset \offen \ioffset \md0 \md1 \md2
.endm

.macro _buffer_load_u16_dtl voffset base soffset offen ioffset md0 md1 md2
    buffer_load_ushort \voffset \base \soffset \offen \ioffset \md0 \md1 \md2
.endm

.macro _buffer_store_b32 src voffset base soffset offen ioffset md0 md1 md2
    buffer_store_dword \src \voffset \base \soffset \offen \ioffset \md0 \md1 \md2
.endm

.macro _buffer_store_b64 src voffset base soffset offen ioffset md0 md1 md2
    buffer_store_dwordx2 \src \voffset \base \soffset \offen \ioffset \md0 \md1 \md2
.endm

.macro _buffer_store_b96 src voffset base soffset offen ioffset md0 md1 md2
    buffer_store_dwordx3 \src \voffset \base \soffset \offen \ioffset \md0 \md1 \md2
.endm

.macro _buffer_store_b128 src voffset base soffset offen ioffset md0 md1 md2
    buffer_store_dwordx4 \src \voffset \base \soffset \offen \ioffset \md0 \md1 \md2
.endm

.macro _buffer_store_b16 src voffset base soffset offen ioffset md0 md1 md2
    buffer_store_short \src \voffset \base \soffset \offen \ioffset \md0 \md1 \md2
.endm

.macro _buffer_store_d16_hi_b16 src voffset base soffset offen ioffset md0 md1 md2
    buffer_store_short_d16_hi \src \voffset \base \soffset \offen \ioffset \md0 \md1 \md2
.endm

.macro _buffer_store_b8 src voffset base soffset offen ioffset md0 md1 md2
    buffer_store_byte \src \voffset \base \soffset \offen \ioffset \md0 \md1 \md2
.endm

.macro _buffer_store_d16_hi_b8 src voffset base soffset offen ioffset md0 md1 md2
    buffer_store_byte_d16_hi \src \voffset \base \soffset \offen \ioffset \md0 \md1 \md2
.endm

.macro _buffer_atomic_cmpswap_b32 dst voffset base soffset offen ioffset md0 md1 md2
    buffer_atomic_cmpswap \dst \voffset \base \soffset \offen \ioffset \md0 \md1 \md2
.endm

.macro _buffer_atomic_cmpswap_b64 dst voffset base soffset offen ioffset md0 md1 md2
    buffer_atomic_cmpswap_x2 \dst \voffset \base \soffset \offen \ioffset \md0 \md1 \md2
.endm


/* buffer memory operation macros */
.macro _global_load_b32 dst base src ioffset md0 md1 md2
    global_load_dword \dst \base \src \ioffset \md0 \md1 \md2
.endm

.macro _global_load_b64 dst base src ioffset md0 md1 md2
    global_load_dwordx2 \dst \base \src \ioffset \md0 \md1 \md2
.endm

.macro _global_load_b96 dst base src ioffset md0 md1 md2
    global_load_dwordx3 \dst \base \src \ioffset \md0 \md1 \md2
.endm

.macro _global_load_b128 dst base src ioffset md0 md1 md2
    global_load_dwordx4 \dst \base \src \ioffset \md0 \md1 \md2
.endm

.macro _global_load_d16_b16 dst base src ioffset md0 md1 md2
    global_load_short_d16 \dst \base \src \ioffset \md0 \md1 \md2
.endm

.macro _global_load_d16_hi_b16 dst base src ioffset md0 md1 md2
    global_load_short_d16_hi \dst \base \src \ioffset \md0 \md1 \md2
.endm

.macro _global_load_d16_u8 dst base src ioffset md0 md1 md2
    global_load_ubyte_d16 \dst \base \src \ioffset \md0 \md1 \md2
.endm

.macro _global_load_d16_hi_u8 dst base src ioffset md0 md1 md2
    global_load_ubyte_d16_hi \dst \base \src \ioffset \md0 \md1 \md2
.endm

.macro _global_load_u16 dst base src ioffset md0 md1 md2
    global_load_ushort \dst \base \src \ioffset \md0 \md1 \md2
.endm

.macro _global_store_b32 base src src2 md0 md1 md2
    global_store_dword \base \src \src2 \md0 \md1 \md2
.endm

.macro _global_store_b64 base src src2 md0 md1 md2
    global_store_dwordx2 \base \src \src2 \md0 \md1 \md2
.endm

.macro _global_store_b96 base src src2 md0 md1 md2
    global_store_dwordx3 \base \src \src2 \md0 \md1 \md2
.endm

.macro _global_store_b128 base src src2 md0 md1 md2
    global_store_dwordx4 \base \src \src2 \md0 \md1 \md2
.endm

.macro _global_store_d16_b16 base src src2 md0 md1 md2
    global_store_short \base \src \src2 \md0 \md1 \md2
.endm

.macro _global_store_d16_hi_b16 base src src2 md0 md1 md2
    global_store_short_d16_hi \base \src \src2 \md0 \md1 \md2
.endm

.macro _global_store_d16_u8 base src src2 md0 md1 md2
    global_store_ubyte_d16 \base \src \src2 \md0 \md1 \md2
.endm

.macro _global_store_d16_hi_u8 base src src2 md0 md1 md2
    global_store_ubyte_d16_hi \base \src \src2 \md0 \md1 \md2
.endm

.macro _global_store_u16 base src src2 md0 md1 md2
    global_store_ushort \base \src \src2 \md0 \md1 \md2
.endm

.macro _global_atomic_cmpswap_b32 tmp base data src ioffset md
    global_atomic_cmpswap \tmp \base \data \src \ioffset \md
.endm

.macro _global_atomic_cmpswap_b64 tmp base data src ioffset md
    global_atomic_cmpswap_x2 \tmp \base \data \src \ioffset \md
.endm


/******************************************/
/* Magic div and mod functions            */
/******************************************/
.macro V_MAGIC_DIV dstIdx:req, dividend:req, magicNumber:req, magicShift:req, magicA:req
    v_mul_hi_u32 v[\dstIdx+1], \dividend, \magicNumber
    v_mul_lo_u32 v[\dstIdx+0], \dividend, \magicA
    _v_add_u32 v[\dstIdx+0], v[\dstIdx+0], v[\dstIdx+1]
    v_lshrrev_b32 v[\dstIdx+0], \magicShift, v[\dstIdx+0]
.endm

/******************************************/
/* VGPR Assignments                       */
/******************************************/
/* ValuC range: [0-96), serializedStore enabled */
.set vgprValuC, 0
/* ValuA/B   Xn=PLR buffer idx,  In=InnerUnroll idx */
.set vgprValuA_X0_I0, 96
.set vgprValuA_X1_I0, 100
.set vgprValuA_X2_I0, 104
.set vgprValuA_X3_I0, 108
.set vgprG2LA, 180
.set vgprValuB_X0_I0, 112
.set vgprValuB_X1_I0, 124
.set vgprValuB_X2_I0, 136
.set vgprValuB_X3_I0, 148
.set vgprG2LB, 196
.set vgprLocalWriteAddrA, 160
.set vgprLocalWriteAddrB, 161
.set vgprGlobalReadAddrA, 162
.set vgprGlobalReadAddrB, 170
.set vgprGlobalReadIncsA, 176
.set vgprGlobalReadIncsB, 178
.set vgprLocalReadAddrA, 208
.set vgprLocalReadAddrB, 209
.set vgprSerial, 210
/* Num VGPR=256 */
/* Num AccVGPR=0 */

/******************************************/
/* SGPR Assignments                       */
/******************************************/
.set sgprKernArgAddress, 0 // (2)
.set sgprWorkGroup0, 2 // (1)
.set sgprWorkGroup1, 3 // (1)
.set sgprWorkGroup2, 4 // (1)
.set sgprLoopCounterL, 5 // (1)
.set sgprOrigLoopCounter, 6 // (1)
.set sgprTensor2dSizeA, 8 // (2)
.set sgprTensor2dSizeB, 10 // (2)
.set sgprAddressD, 12 // (2)
.set sgprAddressC, 14 // (2)
.set sgprAddressA, 16 // (2)
.set sgprAddressB, 18 // (2)
.set sgprOffsetD, 20 // (2)
.set sgprOffsetC, 22 // (2)
.set sgprOffsetA, 24 // (2)
.set sgprOffsetB, 26 // (2)
.set sgprAlpha, 28 // (2)
.set sgprBeta, 30 // (2)
.set sgprStridesD, 32 // (2)
.set sgprStridesC, 34 // (2)
.set sgprStridesA, 36 // (2)
.set sgprStridesB, 38 // (2)
.set sgprSizesFree, 40 // (3)
.set sgprSizesSum, 43 // (1)
.set sgprNumWorkGroups0, 44 // (1)
.set sgprNumWorkGroups1, 45 // (1)
.set sgprNumFullBlocks, 46 // (1)
.set sgprWgmRemainder1, 47 // (1)
.set sgprMagicNumberWgmRemainder1, 48 // (1)
/* max SGPR=102 */

/* Size Assignments */
.set sgprSizeI, sgprSizesFree+0
.set sgprSizeJ, sgprSizesFree+1
.set sgprSizeK, sgprSizesFree+2
.set sgprSizeL, sgprSizesSum+0

/* Stride Assignments */
.set constStrideD0I, 1
.set sgprStrideD1J, sgprStridesD+0
.set sgprStrideDK, sgprStridesD+1
.set constStrideC0I, 1
.set sgprStrideC1J, sgprStridesC+0
.set sgprStrideCK, sgprStridesC+1
.set constStrideAL, 1
.set sgprStrideA0I, sgprStridesA+0
.set sgprStrideAK, sgprStridesA+1
.set constStrideBL, 1
.set sgprStrideB1J, sgprStridesB+0
.set sgprStrideBK, sgprStridesB+1

.set MT0, 128
.set MT1, 96
.set DepthU, 16
.set GSU, 1
.set BpeA, 8
.set BpeALog2, 3
.set BpeB, 8
.set BpeBLog2, 3
/* Number of elements to shift-left SRD */
.set SrdShiftLeftA, 2
.set SrdShiftLeftB, 2

/* Global Offset D */
.macro GLOBAL_OFFSET_D vgprAddr:req vgprOffset0I:req vgprOffset1J:req vgprTmp:req
v_mul_lo_u32 v[\vgprTmp+0], s[sgprStrideD1J], v[\vgprOffset1J] // mul d1 lower
v_mul_hi_u32 v[\vgprTmp+1], s[sgprStrideD1J], v[\vgprOffset1J] // mul d1 upper
_v_add_co_u32 v[\vgprAddr+0], vcc, v[\vgprOffset0I], v[\vgprTmp+0] // accumulate K lower
_v_addc_co_u32 v[\vgprAddr+1], vcc, v[\vgprTmp+1], 0, vcc // accumulate K upper
v_lshlrev_b64 v[\vgprAddr+0:\vgprAddr+1], 0x3, v[\vgprAddr+0:\vgprAddr+1] // offset *= bytes/element
.endm

/* Global Offset C */
.macro GLOBAL_OFFSET_C vgprAddr:req vgprOffset0I:req vgprOffset1J:req vgprTmp:req
v_mul_lo_u32 v[\vgprTmp+0], s[sgprStrideC1J], v[\vgprOffset1J] // mul d1 lower
v_mul_hi_u32 v[\vgprTmp+1], s[sgprStrideC1J], v[\vgprOffset1J] // mul d1 upper
_v_add_co_u32 v[\vgprAddr+0], vcc, v[\vgprOffset0I], v[\vgprTmp+0] // accumulate K lower
_v_addc_co_u32 v[\vgprAddr+1], vcc, v[\vgprTmp+1], 0, vcc // accumulate K upper
v_lshlrev_b64 v[\vgprAddr+0:\vgprAddr+1], 0x3, v[\vgprAddr+0:\vgprAddr+1] // offset *= bytes/element
.endm

/* Global Offset A */
.macro GLOBAL_OFFSET_A vgprAddr:req vgprOffsetL:req vgprOffset0I:req vgprTmp:req
v_mul_lo_u32 v[\vgprTmp+0], s[sgprStrideA0I], v[\vgprOffset0I] // mul d1 lower
v_mul_hi_u32 v[\vgprTmp+1], s[sgprStrideA0I], v[\vgprOffset0I] // mul d1 upper
_v_add_co_u32 v[\vgprAddr+0], vcc, v[\vgprOffsetL], v[\vgprTmp+0] // accumulate K lower
_v_addc_co_u32 v[\vgprAddr+1], vcc, v[\vgprTmp+1], 0, vcc // accumulate K upper
v_lshlrev_b64 v[\vgprAddr+0:\vgprAddr+1], 0x3, v[\vgprAddr+0:\vgprAddr+1] // offset *= bytes/element
.endm

/* Global Offset B */
.macro GLOBAL_OFFSET_B vgprAddr:req vgprOffsetL:req vgprOffset1J:req vgprTmp:req
v_mul_lo_u32 v[\vgprTmp+0], s[sgprStrideB1J], v[\vgprOffset1J] // mul d1 lower
v_mul_hi_u32 v[\vgprTmp+1], s[sgprStrideB1J], v[\vgprOffset1J] // mul d1 upper
_v_add_co_u32 v[\vgprAddr+0], vcc, v[\vgprOffsetL], v[\vgprTmp+0] // accumulate K lower
_v_addc_co_u32 v[\vgprAddr+1], vcc, v[\vgprTmp+1], 0, vcc // accumulate K upper
v_lshlrev_b64 v[\vgprAddr+0:\vgprAddr+1], 0x3, v[\vgprAddr+0:\vgprAddr+1] // offset *= bytes/element
.endm

/******************************************/
/* Dynamic Scalar Divide: vQuotient=vDividend/vDivisor; vRemainder=vDividend%vDivisor; */
/******************************************/
.macro DYNAMIC_VECTOR_DIVIDE vQuotient vRemainder vDividend vDivisor vTmp0 vTmp1 sTmp
v_cvt_f32_u32 v[\vQuotient], v[\vDivisor]          // 
v_rcp_f32 v[\vQuotient], v[\vQuotient]             // 
v_mul_f32 v[\vQuotient], 0x4f800000, v[\vQuotient] // 
v_cvt_u32_f32 v[\vQuotient], v[\vQuotient]         // 
v_mul_lo_u32 v[\vRemainder], v[\vDivisor], v[\vQuotient] // 
v_mul_hi_u32 v[\vTmp0], v[\vDivisor], v[\vQuotient] // 
_v_sub_co_u32 v[\vTmp1], vcc, 0x0, v[\vRemainder]  // 
v_cmp_ne_i32 s[\sTmp:\sTmp+1], 0x0, v[\vTmp0]      // 
v_cndmask_b32 v[\vRemainder], v[\vTmp1], v[\vRemainder], s[\sTmp:\sTmp+1] // 
v_mul_hi_u32 v[\vRemainder], v[\vRemainder], v[\vQuotient] // 
_v_sub_co_u32 v[\vTmp0], vcc, v[\vQuotient], v[\vRemainder] // 
_v_add_co_u32 v[\vQuotient], vcc, v[\vQuotient], v[\vRemainder] // 
v_cndmask_b32 v[\vQuotient], v[\vQuotient], v[\vTmp0], s[\sTmp:\sTmp+1] // 
v_mul_hi_u32 v[\vQuotient], v[\vQuotient], v[\vDividend] // 
v_mul_lo_u32 v[\vRemainder], v[\vQuotient], v[\vDivisor] // 
_v_sub_co_u32 v[\vTmp0], vcc, v[\vDividend], v[\vRemainder] // 
v_cmp_ge_u32 s[\sTmp:\sTmp+1], v[\vDividend], v[\vRemainder] // 
_v_add_co_u32 v[\vRemainder], vcc, 0x1, v[\vQuotient] // 
_v_add_co_u32 v[\vTmp1], vcc, -1, v[\vQuotient]    // 
v_cmp_le_u32 vcc, v[\vDivisor], v[\vTmp0]          // 
s_and_b64 vcc, s[\sTmp:\sTmp+1], vcc               // 
v_cndmask_b32 v[\vQuotient], v[\vQuotient], v[\vRemainder], vcc // 
v_cndmask_b32 v[\vQuotient], v[\vTmp1], v[\vQuotient], s[\sTmp:\sTmp+1] // 
v_cmp_ne_i32 vcc, 0x0, v[\vDivisor]                // 
v_cndmask_b32 v[\vQuotient], -1, v[\vQuotient], vcc // final result
v_mul_lo_u32 v[\vRemainder], v[\vQuotient], v[\vDivisor] // 
_v_sub_co_u32 v[\vRemainder], vcc, v[\vDividend], v[\vRemainder] // final result
.endm


	;; [unrolled: 1-line block ×3, first 2 shown]
/******************************************/
/* Allocate Resources                     */
/******************************************/

Cijk_Alik_Bljk_DB_GB_MT128x96x16_MI16x16x4x1_SN_1LDSB1_APM1_AF0EM1_AF1EM1_AMAS3_ASGT_ASLT_ASAE01_ASCE01_ASEM1_BL0_BS0_CLR0_DTLA0_DTLB0_DTVA0_DVO0_EPS0_FL0_GLVWA2_GLVWB2_GRVW2_GSU1_GSUASB_GLS0_ISA90a_IU1_K1_KLA_LBSPPA0_LBSPPB0_LPA2_LPB2_LDL1_LRVW1_LDW0_FMA_MIAV1_MMFGLC_NTA0_NTB0_NTC3_NTD3_NEPBS0_NLCA1_NLCB1_ONLL1_OPLV0_PK0_PAP0_PGR2_PLR5_SIA3_SS1_SU0_SUM0_SUS0_SCIUI1_SPO1_SRVW0_SSO8_SVW2_SNLL0_TT2_96_TLDS0_UMLDSA0_UMLDSB0_USFGROn1_VAW1_VSn1_VW2_VWB1_VFLRP0_WSGRA0_WSGRB0_WG64_4_1_WGM8_preloaded: // Kernel start when preloading
s_setprio 3                                        // optimization store

/* Load Kernel Args */
_s_load_b512 s[8:23], s[sgprKernArgAddress:sgprKernArgAddress+1], 0x0 // 
_s_load_b512 s[24:39], s[sgprKernArgAddress:sgprKernArgAddress+1], 0x40 // 
_s_load_b256 s[40:47], s[sgprKernArgAddress:sgprKernArgAddress+1], 0x80 // 
_s_load_b32 s48, s[sgprKernArgAddress:sgprKernArgAddress+1], 0xa0 // 
s_mov_b32 m0, 0x7200                               // LDS clamp at 29184 bytes
v_mov_b32 v[vgprSerial], v0                        // thread serial id

/******************************************/
/* Local Read Addresses                   */
/******************************************/


/* local read addresses: tile assignments a/b */

/*lr0I*/
v_and_b32 v1, 63, v[vgprSerial]                    // 0. thread id in wave: wtid = tid % wavelength(64)
v_and_b32 v0, 15, v1                               // 1. N offset: nIdx = wtid % MI_N(16)
                                                   // 1. N offset: nOffset = nIdx * nStride(1) (multiplier is 1, do nothing)
                                                   // 2. block offset: bnIdx = bnIdx % num1DBlocks(1) is 0. do nothing
v_lshlrev_b32 v0, 0x1, v0                          // 4. apply VectorWidth: bnOffset = bnOffset * vw(2)
v_lshrrev_b32 v1, 4, v1                            // 5. K offset: kIdx = wtid / (MIN(16) * MIBB(1))
s_mov_b32 s7, 0x82                                 // 5. K offset: lrKOffset = kIdx * mStride(130)
v_mul_lo_u32 v1, s7, v1                            // 5. K offset: lrKOffset = kIdx * mStride(130)
_v_add_u32 v0, v1, v0                              // 6. offset in wave: lrOffset = bnOffset + lrKOffset
v_lshrrev_b32 v2, 6, v[vgprSerial]                 // 7. wave offset in N dimen: wtid = tid / dividedForWaveId(64)
v_and_b32 v1, 3, v2                                // 7. wave offset in M dimen: wtid0 = wtid / num1DWaves(4)
v_lshlrev_b32 v1, 0x5, v1                          // 7. wave offset in M dimen: wOffset = wtid0 * W0Stride(32)
_v_add_u32 v0, v1, v0                              // 8. final local read offset: flrOffset = lrOffset + WOffset
/*lr1J*/
v_and_b32 v2, 63, v[vgprSerial]                    // 0. thread id in wave: wtid = tid % wavelength(64)
v_and_b32 v1, 15, v2                               // 1. N offset: nIdx = wtid % MI_N(16)
                                                   // 1. N offset: nOffset = nIdx * nStride(1) (multiplier is 1, do nothing)
                                                   // 2. block offset: bnIdx = bnIdx % num1DBlocks(1) is 0. do nothing
                                                   // 4. apply VectorWidth: bnOffset = bnOffset * vw(1) (multiplier is 1, do nothing)
v_lshrrev_b32 v2, 4, v2                            // 5. K offset: kIdx = wtid / (MIN(16) * MIBB(1))
s_mov_b32 s7, 0x62                                 // 5. K offset: lrKOffset = kIdx * mStride(98)
v_mul_lo_u32 v2, s7, v2                            // 5. K offset: lrKOffset = kIdx * mStride(98)
_v_add_u32 v1, v2, v1                              // 6. offset in wave: lrOffset = bnOffset + lrKOffset


/* local read addresses: final offsets a */

v_lshlrev_b32 v[vgprLocalReadAddrA], 0x3, v0       // Final Offset: offset = (lro0)*bpe


/* local read addresses: final offsets b */

v_lshlrev_b32 v[vgprLocalReadAddrB], 0x3, v1       // Final Offset: offset = (lro1)*bpe


/* local read addresses: declare addresses a */

/* N/A */


/* local read addresses: declare addresses b */

_v_add_co_u32 v[vgprLocalReadAddrB+0], vcc, 0x4100, v[vgprLocalReadAddrB+0] //  += LdsOffsetB (lower)
s_waitcnt lgkmcnt(0)                               // wait for 164 bytes of kern args

s_mul_i32 s50, s[sgprWorkGroup2], 8                // offset of global buffer address
_s_load_b64 s[sgprAddressD:sgprAddressD+1], s[sgprAddressD:sgprAddressD+1], s50 // load global buffer D address
v_cmp_eq_f64 vcc, s[sgprBeta:sgprBeta+1], 0.0      // Beta == 0.0 ?
s_cbranch_vccnz label_skip_c_buffer_deref_WorkGroup2_10 // branch if Beta == 0
s_mul_i32 s50, s[sgprWorkGroup2], 8                // offset of global buffer address
_s_load_b64 s[sgprAddressC:sgprAddressC+1], s[sgprAddressC:sgprAddressC+1], s50 // load global buffer C address
label_skip_c_buffer_deref_WorkGroup2_10: // 
s_mov_b32 s50, 0x1                                 // check summation size
s_mul_i32 s50, s[sgprSizesSum+0], s50              // check summation size
s_cmp_eq_u32 s50, 0x0                              // skip buffer deref is size of summation is 0
s_cbranch_scc1 label_skip_ab_buffer_deref_WorkGroup2_11 // skip buffer deref is size of summation is 0
v_cmp_eq_f64 vcc, s[sgprAlpha:sgprAlpha+1], 0.0    // Alpha == 0.0 ?
s_cbranch_vccnz label_skip_ab_buffer_deref_WorkGroup2_11 // branch if Alpha == 0
s_mul_i32 s50, s[sgprWorkGroup2], 8                // offset of global buffer address
_s_load_b64 s[sgprAddressA:sgprAddressA+1], s[sgprAddressA:sgprAddressA+1], s50 // load global buffer A address
_s_load_b64 s[sgprAddressB:sgprAddressB+1], s[sgprAddressB:sgprAddressB+1], s50 // load global buffer B address
label_skip_ab_buffer_deref_WorkGroup2_11: // 
s_waitcnt lgkmcnt(0)                               // wait global buffer address ready
s_lshl_b64 s[sgprOffsetD:sgprOffsetD+1], s[sgprOffsetD:sgprOffsetD+1], 0x3 // elements offset to bytes offset
s_add_u32 s[sgprAddressD+0], s[sgprAddressD+0], s[sgprOffsetD] // add offset to buffer address
s_addc_u32 s[sgprAddressD+1], s[sgprAddressD+1], s[sgprOffsetD+1] // add offset to buffer address
s_lshl_b64 s[sgprOffsetC:sgprOffsetC+1], s[sgprOffsetC:sgprOffsetC+1], 0x3 // elements offset to bytes offset
s_add_u32 s[sgprAddressC+0], s[sgprAddressC+0], s[sgprOffsetC] // add offset to buffer address
s_addc_u32 s[sgprAddressC+1], s[sgprAddressC+1], s[sgprOffsetC+1] // add offset to buffer address
s_lshl_b64 s[sgprOffsetA:sgprOffsetA+1], s[sgprOffsetA:sgprOffsetA+1], 0x3 // elements offset to bytes offset
s_add_u32 s[sgprAddressA+0], s[sgprAddressA+0], s[sgprOffsetA] // add offset to buffer address
s_addc_u32 s[sgprAddressA+1], s[sgprAddressA+1], s[sgprOffsetA+1] // add offset to buffer address
s_lshl_b64 s[sgprOffsetB:sgprOffsetB+1], s[sgprOffsetB:sgprOffsetB+1], 0x3 // elements offset to bytes offset
s_add_u32 s[sgprAddressB+0], s[sgprAddressB+0], s[sgprOffsetB] // add offset to buffer address
s_addc_u32 s[sgprAddressB+1], s[sgprAddressB+1], s[sgprOffsetB+1] // add offset to buffer address

.set OffsetD, UNDEF
.set OffsetC, UNDEF
.set OffsetA, UNDEF
.set OffsetB, UNDEF

/* Short circuit condition if Alpha == 0, then sumDims=0 */
v_cmp_eq_f64 vcc, s[sgprAlpha:sgprAlpha+1], 0.0    // Alpha == 0.0 ?
s_cbranch_vccz label_AlphaNonZero                  // branch if Alpha != 0
s_mov_b32 s[sgprSizesSum+0], 0x0                   // Set summation dim=0 if Alpha == 0
label_AlphaNonZero:


	;; [unrolled: 1-line block ×3, first 2 shown]
/******************************************/
/* Begin setupNewTile, isPap=False           */
/******************************************/


/* global read addresses: work-group */

/* graWorkGroup mapping */
s_mov_b32 s23, 0x10000001L                         // magic number for WGM==8
s_mul_hi_u32 s21, s[sgprWorkGroup1], s23           // s_magic mul
s_mul_i32 s20, s[sgprWorkGroup1], s23              // s_magic mul
s_lshr_b64 s[20:21], s[20:21], 31                  // sMagicDiv
s_mul_i32 s21, s20, 8                              // quotient * non-magic divisor
s_sub_u32 s21, s[sgprWorkGroup1], s21              // WorkGroup1=remainder
s_mul_i32 s21, s21, s[sgprNumWorkGroups0]          // (wg1 % WGM)*nwg0
s_add_u32 s21, s21, s[sgprWorkGroup0]              // wgSerial = wg0 + (wg1 % WGM)*nwg1
s_cmp_ge_u32 s20, s[sgprNumFullBlocks]             // blockId >= numFullBlocks ?
s_cmov_b32 s23, s[sgprMagicNumberWgmRemainder1]    // 
s_cselect_b32 s22, s[sgprWgmRemainder1], 8         // 
s_mul_hi_u32 s3, s21, s23                          // s_magic mul
s_mul_i32 s2, s21, s23                             // s_magic mul
s_lshr_b64 s[2:3], s[2:3], 31                      // sMagicDiv
s_mul_i32 s[sgprWorkGroup1], s[sgprWorkGroup0], s22 // quotient * non-magic divisor
s_sub_u32 s[sgprWorkGroup1], s21, s[sgprWorkGroup1] // WorkGroup1=remainder
s_mul_i32 s20, s20, 8                              // blockId * WGM
s_add_u32 s[sgprWorkGroup1], s[sgprWorkGroup1], s20 // wg1 += blockId * WGM


/* global read addresses: tile offset assignment a */

/* LVCA = 8 */
/* v2 = groA-tile = serial/LVCA + (wgA*MTA) */
/* v1 = groA-unroll = serial%LVCA */
v_lshrrev_b32 v0, 3, v[vgprSerial]                 // v0 = v[vgprSerial] / 8
v_and_b32 v1, 7, v[vgprSerial]                     // v1 = v[vgprSerial] % 8
/* gro-unroll *= glvw */
v_lshlrev_b32 v1, 0x1, v1                          // v1 = v1 * 2
v_lshlrev_b32 v3, 0x7, s[sgprWorkGroup0]           // v3 = s[sgprWorkGroup0] * 128
_v_add_co_u32 v2, vcc, v3, v0                      // groA-tile = serial/LVCA*VW + (wgA*MTA)


/* global read addresses: tile offset assignment b */

/* LVCB = 8 */
/* v5 = groB-tile = serial/LVCB + (wgB*MTB) */
/* v4 = groB-unroll = serial%LVCB */
v_lshrrev_b32 v3, 3, v[vgprSerial]                 // v3 = v[vgprSerial] / 8
v_and_b32 v4, 7, v[vgprSerial]                     // v4 = v[vgprSerial] % 8
/* gro-unroll *= glvw */
v_lshlrev_b32 v4, 0x1, v4                          // v4 = v4 * 2
v_mov_b32 v6, 0x60                                 // v6 = s[sgprWorkGroup1] * 96
v_mul_lo_u32 v6, v6, s[sgprWorkGroup1]             // v6 = s[sgprWorkGroup1] * 96
_v_add_co_u32 v5, vcc, v6, v3                      // groB-tile = serial/LVCB*VW + (wgB*MTB)


/* global read addresses: unroll assignment a */

/* v1 */


/* global read addresses: unroll assignment b */

/* v4 */


/* global read addresses: other free assignments */

/* s[sgprWorkGroup2] */


/* global read addresses: tile offsets a */

v_mov_b32 v6, v2                                   // groA0I_0
_v_add_co_u32 v7, vcc, 32, v6                      // groA0I_1 += LSPA
_v_add_co_u32 v8, vcc, 32, v7                      // groA0I_2 += LSPA
_v_add_co_u32 v9, vcc, 32, v8                      // groA0I_3 += LSPA


/* global read addresses: tile offsets b */

v_mov_b32 v10, v5                                  // groB1J_0
_v_add_co_u32 v11, vcc, 32, v10                    // groB1J_1 += LSPB
_v_add_co_u32 v12, vcc, 32, v11                    // groB1J_2 += LSPB


/* global read addresses: unroll offsets a */

v_mov_b32 v2, v1                                   // groAL_0


/* global read addresses: unroll offsets b */

v_mov_b32 v5, v4                                   // groBL_0


/* global read addresses: shift a */

s_sub_u32 s7, s[sgprSizeI], 1                      // edge = Size0I-1
v_mov_b32 v13, s7                                  // edge vgpr = Size0I-1
v_cmp_lt_u32 s[20:21], v6, v13                     // shiftedOffset < shiftedEdge
v_cndmask_b32 v6, v13, v6, s[20:21]                // offset = (offset < edge) ? offset(v6) : edge(v13)
v_cmp_lt_u32 s[20:21], v7, v13                     // shiftedOffset < shiftedEdge
v_cndmask_b32 v7, v13, v7, s[20:21]                // offset = (offset < edge) ? offset(v7) : edge(v13)
	;; [unrolled: 2-line block ×4, first 2 shown]


/* global read addresses: shift b */

s_sub_u32 s7, s[sgprSizeJ], 1                      // edge = Size1J-1
v_mov_b32 v13, s7                                  // edge vgpr = Size1J-1
v_cmp_lt_u32 s[20:21], v10, v13                    // shiftedOffset < shiftedEdge
v_cndmask_b32 v10, v13, v10, s[20:21]              // offset = (offset < edge) ? offset(v10) : edge(v13)
v_cmp_lt_u32 s[20:21], v11, v13                    // shiftedOffset < shiftedEdge
v_cndmask_b32 v11, v13, v11, s[20:21]              // offset = (offset < edge) ? offset(v11) : edge(v13)
	;; [unrolled: 2-line block ×3, first 2 shown]


/* global read addresses: final offsets a */

GLOBAL_OFFSET_A vgprGlobalReadAddrA+0,  2,  6, 13 // gROA_0_0_0_0
GLOBAL_OFFSET_A vgprGlobalReadAddrA+2,  2,  7, 13 // gROA_0_0_1_0
GLOBAL_OFFSET_A vgprGlobalReadAddrA+4,  2,  8, 13 // gROA_0_0_2_0
GLOBAL_OFFSET_A vgprGlobalReadAddrA+6,  2,  9, 13 // gROA_0_0_3_0


/* global read addresses: final offsets b */

GLOBAL_OFFSET_B vgprGlobalReadAddrB+0,  5, 10, 6 // gROB_0_0_0_0
GLOBAL_OFFSET_B vgprGlobalReadAddrB+2,  5, 11, 6 // gROB_0_0_1_0
GLOBAL_OFFSET_B vgprGlobalReadAddrB+4,  5, 12, 6 // gROB_0_0_2_0


/* global read addresses: addresses a */

v_mov_b32 v5, s[sgprAddressA+0]                    // 
v_mov_b32 v6, s[sgprAddressA+1]                    // 
_v_add_co_u32 v[vgprGlobalReadAddrA+0+0], vcc, v[vgprGlobalReadAddrA+0+0], v5 // gRAA_0_0_0_0 = addrA+grOA_0_0_0_0 (lower)
_v_addc_co_u32 v[vgprGlobalReadAddrA+0+1], vcc, v[vgprGlobalReadAddrA+0+1], v6, vcc // gRAA_0_0_0_0 = addrA+grOA_0_0_0_0 (upper)
_v_add_co_u32 v[vgprGlobalReadAddrA+2+0], vcc, v[vgprGlobalReadAddrA+2+0], v5 // gRAA_0_0_1_0 = addrA+grOA_0_0_1_0 (lower)
_v_addc_co_u32 v[vgprGlobalReadAddrA+2+1], vcc, v[vgprGlobalReadAddrA+2+1], v6, vcc // gRAA_0_0_1_0 = addrA+grOA_0_0_1_0 (upper)
_v_add_co_u32 v[vgprGlobalReadAddrA+4+0], vcc, v[vgprGlobalReadAddrA+4+0], v5 // gRAA_0_0_2_0 = addrA+grOA_0_0_2_0 (lower)
_v_addc_co_u32 v[vgprGlobalReadAddrA+4+1], vcc, v[vgprGlobalReadAddrA+4+1], v6, vcc // gRAA_0_0_2_0 = addrA+grOA_0_0_2_0 (upper)
_v_add_co_u32 v[vgprGlobalReadAddrA+6+0], vcc, v[vgprGlobalReadAddrA+6+0], v5 // gRAA_0_0_3_0 = addrA+grOA_0_0_3_0 (lower)
_v_addc_co_u32 v[vgprGlobalReadAddrA+6+1], vcc, v[vgprGlobalReadAddrA+6+1], v6, vcc // gRAA_0_0_3_0 = addrA+grOA_0_0_3_0 (upper)


/* global read addresses: addresses b */

v_mov_b32 v5, s[sgprAddressB+0]                    // 
v_mov_b32 v6, s[sgprAddressB+1]                    // 
_v_add_co_u32 v[vgprGlobalReadAddrB+0+0], vcc, v[vgprGlobalReadAddrB+0+0], v5 // gRAB_0_0_0_0 = addrB+grOB_0_0_0_0 (lower)
_v_addc_co_u32 v[vgprGlobalReadAddrB+0+1], vcc, v[vgprGlobalReadAddrB+0+1], v6, vcc // gRAB_0_0_0_0 = addrB+grOB_0_0_0_0 (upper)
_v_add_co_u32 v[vgprGlobalReadAddrB+2+0], vcc, v[vgprGlobalReadAddrB+2+0], v5 // gRAB_0_0_1_0 = addrB+grOB_0_0_1_0 (lower)
_v_addc_co_u32 v[vgprGlobalReadAddrB+2+1], vcc, v[vgprGlobalReadAddrB+2+1], v6, vcc // gRAB_0_0_1_0 = addrB+grOB_0_0_1_0 (upper)
_v_add_co_u32 v[vgprGlobalReadAddrB+4+0], vcc, v[vgprGlobalReadAddrB+4+0], v5 // gRAB_0_0_2_0 = addrB+grOB_0_0_2_0 (lower)
_v_addc_co_u32 v[vgprGlobalReadAddrB+4+1], vcc, v[vgprGlobalReadAddrB+4+1], v6, vcc // gRAB_0_0_2_0 = addrB+grOB_0_0_2_0 (upper)


/* global read addresses: increments a */

s_mul_i32 s20, DepthU*8, constStrideAL             // incrAL = constStrideAL*DepthU*bpe (unrollIdx)
s_mov_b32 s21, 0x0                                 // (carry)
v_mov_b32 v[vgprGlobalReadIncsA+0+0], s20          // 
v_mov_b32 v[vgprGlobalReadIncsA+0+1], s21          // 


/* global read addresses: increments b */

s_mul_i32 s20, DepthU*8, constStrideBL             // incrBL = constStrideBL*DepthU*bpe (unrollIdx)
s_mov_b32 s21, 0x0                                 // (carry)
v_mov_b32 v[vgprGlobalReadIncsB+0+0], s20          // 
v_mov_b32 v[vgprGlobalReadIncsB+0+1], s21          // 


/******************************************/
/* Local Write Addresses                  */
/******************************************/

/* lwaTileAssignmentA = v0 */

/* lwaTileAssignmentB = v3 */

/* lwaUnrollAssignmentA = v1 */

/* lwaUnrollAssignmentB = v4 */


/* local write addresses: first offset a */

v_mul_u32_u24 v[vgprLocalWriteAddrA], 0x82, v1     // lwAL**(MTA + PAD)
_v_add_lshl_u32 v[vgprLocalWriteAddrA], v0, v[vgprLocalWriteAddrA], 0x3 // lwFOA = (lwAA + lwAL*(MT0I+PAD))*bpe


/* local write addresses: first offset b */

v_mul_u32_u24 v[vgprLocalWriteAddrB], 0x62, v4     // lwBL**(MTB + PAD)
_v_add_lshl_u32 v[vgprLocalWriteAddrB], v3, v[vgprLocalWriteAddrB], 0x3 // lwFOB = (lwBB + lwBL*(MT1J+PAD))*bpe
_v_add_co_u32 v[vgprLocalWriteAddrB], vcc, 0x4100, v[vgprLocalWriteAddrB] // lwFOB = lwB1J + lwBL*MT1J + LDS_OFFSET_B=2080*8


	;; [unrolled: 1-line block ×7, first 2 shown]
/* declare loop num iterations */


s_lshr_b32 s[sgprLoopCounterL], s[sgprSizesSum+0], 4 // s[sgprLoopCounterL] = s[sgprSizesSum+0] / 16
s_mov_b32 s[sgprOrigLoopCounter], s[sgprLoopCounterL] // copy loop counter

/* local read addresses: init pointers a */


/* localReadInitPointers */

/* local read addresses: init pointers b */


/* localReadInitPointers */


/* prefetch: global -> local */

s_cmp_eq_u32 s[sgprLoopCounterL], 0                // at last iteration?
s_setprio 0                                        // optimization store
s_cbranch_scc1 ShadowInitStart_12                  // skip to ShadowInitStart iter b/c numIter==0


_global_load_b128 v[vgprG2LA+0:vgprG2LA+0+3], v[vgprGlobalReadAddrA+0:vgprGlobalReadAddrA+0+1], off, offset:0 // G -> Reg 0_0_0_0
_global_load_b128 v[vgprG2LA+4:vgprG2LA+4+3], v[vgprGlobalReadAddrA+2:vgprGlobalReadAddrA+2+1], off, offset:0 // G -> Reg 0_0_1_0
_global_load_b128 v[vgprG2LA+8:vgprG2LA+8+3], v[vgprGlobalReadAddrA+4:vgprGlobalReadAddrA+4+1], off, offset:0 // G -> Reg 0_0_2_0
_global_load_b128 v[vgprG2LA+12:vgprG2LA+12+3], v[vgprGlobalReadAddrA+6:vgprGlobalReadAddrA+6+1], off, offset:0 // G -> Reg 0_0_3_0


_global_load_b128 v[vgprG2LB+0:vgprG2LB+0+3], v[vgprGlobalReadAddrB+0:vgprGlobalReadAddrB+0+1], off, offset:0 // G -> Reg 0_0_0_0
_global_load_b128 v[vgprG2LB+4:vgprG2LB+4+3], v[vgprGlobalReadAddrB+2:vgprGlobalReadAddrB+2+1], off, offset:0 // G -> Reg 0_0_1_0
_global_load_b128 v[vgprG2LB+8:vgprG2LB+8+3], v[vgprGlobalReadAddrB+4:vgprGlobalReadAddrB+4+1], off, offset:0 // G -> Reg 0_0_2_0


/* global read inc A loopL */
_v_add_co_u32  v[vgprGlobalReadAddrA+0+0], vcc, v[vgprGlobalReadAddrA+0+0], v[vgprGlobalReadIncsA+0+0] // gra += incAL (lower)
_v_addc_co_u32 v[vgprGlobalReadAddrA+0+1], vcc, v[vgprGlobalReadAddrA+0+1], v[vgprGlobalReadIncsA+0+1], vcc // gra += incAL (upper)
_v_add_co_u32  v[vgprGlobalReadAddrA+2+0], vcc, v[vgprGlobalReadAddrA+2+0], v[vgprGlobalReadIncsA+0+0] // gra += incAL (lower)
_v_addc_co_u32 v[vgprGlobalReadAddrA+2+1], vcc, v[vgprGlobalReadAddrA+2+1], v[vgprGlobalReadIncsA+0+1], vcc // gra += incAL (upper)
	;; [unrolled: 2-line block ×4, first 2 shown]

/* global read inc B loopL */
_v_add_co_u32  v[vgprGlobalReadAddrB+0+0], vcc, v[vgprGlobalReadAddrB+0+0], v[vgprGlobalReadIncsB+0+0] // gra += incBL (lower)
_v_addc_co_u32 v[vgprGlobalReadAddrB+0+1], vcc, v[vgprGlobalReadAddrB+0+1], v[vgprGlobalReadIncsB+0+1], vcc // gra += incBL (upper)
_v_add_co_u32  v[vgprGlobalReadAddrB+2+0], vcc, v[vgprGlobalReadAddrB+2+0], v[vgprGlobalReadIncsB+0+0] // gra += incBL (lower)
_v_addc_co_u32 v[vgprGlobalReadAddrB+2+1], vcc, v[vgprGlobalReadAddrB+2+1], v[vgprGlobalReadIncsB+0+1], vcc // gra += incBL (upper)
	;; [unrolled: 2-line block ×3, first 2 shown]


/******************************************/
/* End setupNewTile, isPap=False             */
/******************************************/

ShadowInitStart_12: // 


	;; [unrolled: 1-line block ×3, first 2 shown]
/* initC: remove C-tile 0-96 from pool */

/* initC: remove AB-tile 96-160 from pool */
v_mov_b32 v211, 15728640                           // set out-of-bound addr
_ds_load_b32 v[vgprValuC+0], v211, offset:0        // initC
_ds_load_b32 v[vgprValuC+1], v211, offset:0        // initC
	;; [unrolled: 1-line block ×10, first 2 shown]
_ds_load_b32 v[vgprValuC+10], v211, offset:0       // initC
_ds_load_b32 v[vgprValuC+11], v211, offset:0       // initC
	;; [unrolled: 1-line block ×86, first 2 shown]

s_cmp_eq_u32 s[sgprLoopCounterL], 0                // at last iteration?

/* after InitC, skip to end of prefetch last iter if numIter==0 */
s_cbranch_scc0 label_NoBranch_13                   // Only branch on scc1
s_getpc_B64 s[20:21]                               // addr of next instr
s_add_i32 s22, PrefetchGlobalLastIterEnd_5, 0x4    // target branch offset
s_add_u32 s20, s20, s22                            // add target branch offset
s_addc_u32 s21, s21, 0                             // add high and carry
s_setpc_b64 s[20:21]                               // branch to PrefetchGlobalLastIterEnd_5
label_NoBranch_13:

s_waitcnt vmcnt(0)                                 // lgkmcnt=-1 vmcnt=0 8wait for global read


/* local write a */
_ds_store_b64 v[vgprLocalWriteAddrA], v[vgprG2LA+0:vgprG2LA+0+1] offset:0 // lwoA_0_0_0_0 = (0 + 0*LSCA)*(MT0I+PAD) + (0*LSPA) = 0
_ds_store_b64 v[vgprLocalWriteAddrA], v[vgprG2LA+2:vgprG2LA+2+1] offset:1040 // lwoA_0_1_0_0 = (1 + 0*LSCA)*(MT0I+PAD) + (0*LSPA) = 1040
_ds_store_b64 v[vgprLocalWriteAddrA], v[vgprG2LA+4:vgprG2LA+4+1] offset:256 // lwoA_0_0_1_0 = (0 + 0*LSCA)*(MT0I+PAD) + (1*LSPA) = 256
_ds_store_b64 v[vgprLocalWriteAddrA], v[vgprG2LA+6:vgprG2LA+6+1] offset:1296 // lwoA_0_1_1_0 = (1 + 0*LSCA)*(MT0I+PAD) + (1*LSPA) = 1296
_ds_store_b64 v[vgprLocalWriteAddrA], v[vgprG2LA+8:vgprG2LA+8+1] offset:512 // lwoA_0_0_2_0 = (0 + 0*LSCA)*(MT0I+PAD) + (2*LSPA) = 512
_ds_store_b64 v[vgprLocalWriteAddrA], v[vgprG2LA+10:vgprG2LA+10+1] offset:1552 // lwoA_0_1_2_0 = (1 + 0*LSCA)*(MT0I+PAD) + (2*LSPA) = 1552
_ds_store_b64 v[vgprLocalWriteAddrA], v[vgprG2LA+12:vgprG2LA+12+1] offset:768 // lwoA_0_0_3_0 = (0 + 0*LSCA)*(MT0I+PAD) + (3*LSPA) = 768
_ds_store_b64 v[vgprLocalWriteAddrA], v[vgprG2LA+14:vgprG2LA+14+1] offset:1808 // lwoA_0_1_3_0 = (1 + 0*LSCA)*(MT0I+PAD) + (3*LSPA) = 1808

/* local write b */
_ds_store_b64 v[vgprLocalWriteAddrB], v[vgprG2LB+0:vgprG2LB+0+1] offset:0 // lwoB_0_0_0_0 = (0 + 0*LSCB)*(MT1J+PAD) + (0*LSPB) = 0
_ds_store_b64 v[vgprLocalWriteAddrB], v[vgprG2LB+2:vgprG2LB+2+1] offset:784 // lwoB_0_1_0_0 = (1 + 0*LSCB)*(MT1J+PAD) + (0*LSPB) = 784
_ds_store_b64 v[vgprLocalWriteAddrB], v[vgprG2LB+4:vgprG2LB+4+1] offset:256 // lwoB_0_0_1_0 = (0 + 0*LSCB)*(MT1J+PAD) + (1*LSPB) = 256
_ds_store_b64 v[vgprLocalWriteAddrB], v[vgprG2LB+6:vgprG2LB+6+1] offset:1040 // lwoB_0_1_1_0 = (1 + 0*LSCB)*(MT1J+PAD) + (1*LSPB) = 1040
_ds_store_b64 v[vgprLocalWriteAddrB], v[vgprG2LB+8:vgprG2LB+8+1] offset:512 // lwoB_0_0_2_0 = (0 + 0*LSCB)*(MT1J+PAD) + (2*LSPB) = 512
_ds_store_b64 v[vgprLocalWriteAddrB], v[vgprG2LB+10:vgprG2LB+10+1] offset:1296 // lwoB_0_1_2_0 = (1 + 0*LSCB)*(MT1J+PAD) + (2*LSPB) = 1296


/* local write swap a */



/* local write swap b */


	;; [unrolled: 1-line block ×4, first 2 shown]
s_cmp_eq_u32 s[sgprLoopCounterL] 0x1               // PGR=2 but only 1 loop
s_cbranch_scc1 label_0014                          // PGR=2 but only 1 loop


_global_load_b128 v[vgprG2LA+0:vgprG2LA+0+3], v[vgprGlobalReadAddrA+0:vgprGlobalReadAddrA+0+1], off, offset:0 // G -> Reg 0_0_0_0
_global_load_b128 v[vgprG2LA+4:vgprG2LA+4+3], v[vgprGlobalReadAddrA+2:vgprGlobalReadAddrA+2+1], off, offset:0 // G -> Reg 0_0_1_0
_global_load_b128 v[vgprG2LA+8:vgprG2LA+8+3], v[vgprGlobalReadAddrA+4:vgprGlobalReadAddrA+4+1], off, offset:0 // G -> Reg 0_0_2_0
_global_load_b128 v[vgprG2LA+12:vgprG2LA+12+3], v[vgprGlobalReadAddrA+6:vgprGlobalReadAddrA+6+1], off, offset:0 // G -> Reg 0_0_3_0


_global_load_b128 v[vgprG2LB+0:vgprG2LB+0+3], v[vgprGlobalReadAddrB+0:vgprGlobalReadAddrB+0+1], off, offset:0 // G -> Reg 0_0_0_0
_global_load_b128 v[vgprG2LB+4:vgprG2LB+4+3], v[vgprGlobalReadAddrB+2:vgprGlobalReadAddrB+2+1], off, offset:0 // G -> Reg 0_0_1_0
_global_load_b128 v[vgprG2LB+8:vgprG2LB+8+3], v[vgprGlobalReadAddrB+4:vgprGlobalReadAddrB+4+1], off, offset:0 // G -> Reg 0_0_2_0

label_0014:                                        // 

s_waitcnt lgkmcnt(0)                               // lgkmcnt=0 vmcnt=-10prefetch wait for local write

// Skip force waitcnt0
s_barrier //


/* local read prefetch a */

_ds_load_b64 v[vgprValuA_X0_I0+0:vgprValuA_X0_I0+0+1], v[vgprLocalReadAddrA] offset:0 // L -> Reg lro=0 swapByteOffset=0 ti=128 vIdx=0 rIdx=0 oIdx=0 buffer=0 iui=0
_ds_load_b64 v[vgprValuA_X0_I0+2:vgprValuA_X0_I0+2+1], v[vgprLocalReadAddrA] offset:8 // L -> Reg lro=0 swapByteOffset=0 ti=128 vIdx=0 rIdx=0 oIdx=0 buffer=0 iui=0


/* local read prefetch b */

_ds_load_b64 v[vgprValuB_X0_I0+0:vgprValuB_X0_I0+0+1], v[vgprLocalReadAddrB] offset:0 // L -> Reg lro=0 swapByteOffset=0 ti=16 vIdx=0 rIdx=0 oIdx=0 buffer=0 iui=0
_ds_load_b64 v[vgprValuB_X0_I0+2:vgprValuB_X0_I0+2+1], v[vgprLocalReadAddrB] offset:128 // L -> Reg lro=0 swapByteOffset=0 ti=16 vIdx=1 rIdx=0 oIdx=0 buffer=0 iui=0
	;; [unrolled: 1-line block ×6, first 2 shown]


/* local read inc a */

/* N/A, lro->520 */
/* self.localReadDoCntA 1 self.localReadDoCntB 1 */


/* local read inc b */

/* N/A, lro->392 */
/* self.localReadDoCntA 1 self.localReadDoCntB 1 */


	;; [unrolled: 1-line block ×3, first 2 shown]
/******************************************/
/* Unrolled Loop(s) - Begin               */
/******************************************/

openLoopL_15:
s_cmp_eq_u32 s[sgprLoopCounterL], 0x1              // LoopCounterL < EndCounter
s_cbranch_scc1 label_0016                          // PGR=2 but only 1 loop, toPGR1
s_cmp_le_u32 s[sgprLoopCounterL], 0x2              // LoopCounterL < EndCounter
s_cbranch_scc1 LoopEndL_2                          // do not enter LoopL
LoopBeginL_1:


/******************************************/
/* Unrolled Loop 1/1 - Begin              */
/******************************************/

label_0017: // LoopCopy1 


/* Begin Each Unroll: Check VGPR.checkin for INT8 LW */


	;; [unrolled: 1-line block ×3, first 2 shown]
/* iter 0 */

/*  grEndMfmaIndex:5, lwStartMfmaIndex:16, lwEndMfmaIndex:39  */
/*  numMfmaForLR:6, barrierMfmaIndex:41, LocalWritePerMfma:0.265 */
/*  mfmaIndex:0  */
s_waitcnt lgkmcnt(0)                               // lgkmcnt=0 vmcnt=-1wait for prior local read local write old=0, new=0 newLW=0 newLR=0
v_mfma_f64_16x16x4f64 v[0+0:7+0], v[vgprValuB_X0_I0+0+0+0:vgprValuB_X0_I0+0+0+0+1], v[vgprValuA_X0_I0+0+0+0:vgprValuA_X0_I0+0+0+0+1], v[0:7]
/*  mfmaIndex:1  */
_ds_load_b64 v[vgprValuA_X1_I0+0:vgprValuA_X1_I0+0+1], v[vgprLocalReadAddrA] offset:4160 // L -> Reg lro=520 swapByteOffset=0 ti=128 vIdx=0 rIdx=0 oIdx=0 buffer=1 iui=0
_ds_load_b64 v[vgprValuB_X1_I0+0:vgprValuB_X1_I0+0+1], v[vgprLocalReadAddrB] offset:3136 // L -> Reg lro=392 swapByteOffset=0 ti=16 vIdx=0 rIdx=0 oIdx=0 buffer=1 iui=0

/* global read inc A loopL */
_v_add_co_u32  v[vgprGlobalReadAddrA+0+0], vcc, v[vgprGlobalReadAddrA+0+0], v[vgprGlobalReadIncsA+0+0] // gra += incAL (lower)
_v_addc_co_u32 v[vgprGlobalReadAddrA+0+1], vcc, v[vgprGlobalReadAddrA+0+1], v[vgprGlobalReadIncsA+0+1], vcc // gra += incAL (upper)
_v_add_co_u32  v[vgprGlobalReadAddrA+2+0], vcc, v[vgprGlobalReadAddrA+2+0], v[vgprGlobalReadIncsA+0+0] // gra += incAL (lower)
v_mfma_f64_16x16x4f64 v[8+0:15+0], v[vgprValuB_X0_I0+0+0+0:vgprValuB_X0_I0+0+0+0+1], v[vgprValuA_X0_I0+2+0+0:vgprValuA_X0_I0+2+0+0+1], v[8:15]
/*  mfmaIndex:2  */
_ds_load_b64 v[vgprValuA_X1_I0+2:vgprValuA_X1_I0+2+1], v[vgprLocalReadAddrA] offset:4168 // L -> Reg lro=520 swapByteOffset=0 ti=128 vIdx=0 rIdx=0 oIdx=0 buffer=1 iui=0
_ds_load_b64 v[vgprValuB_X1_I0+2:vgprValuB_X1_I0+2+1], v[vgprLocalReadAddrB] offset:3264 // L -> Reg lro=392 swapByteOffset=0 ti=16 vIdx=1 rIdx=0 oIdx=0 buffer=1 iui=0
_v_addc_co_u32 v[vgprGlobalReadAddrA+2+1], vcc, v[vgprGlobalReadAddrA+2+1], v[vgprGlobalReadIncsA+0+1], vcc // gra += incAL (upper)
_v_add_co_u32  v[vgprGlobalReadAddrA+4+0], vcc, v[vgprGlobalReadAddrA+4+0], v[vgprGlobalReadIncsA+0+0] // gra += incAL (lower)
_v_addc_co_u32 v[vgprGlobalReadAddrA+4+1], vcc, v[vgprGlobalReadAddrA+4+1], v[vgprGlobalReadIncsA+0+1], vcc // gra += incAL (upper)
v_mfma_f64_16x16x4f64 v[24+0:31+0], v[vgprValuB_X0_I0+2+0+0:vgprValuB_X0_I0+2+0+0+1], v[vgprValuA_X0_I0+2+0+0:vgprValuA_X0_I0+2+0+0+1], v[24:31]
/*  mfmaIndex:3  */
_ds_load_b64 v[vgprValuB_X1_I0+4:vgprValuB_X1_I0+4+1], v[vgprLocalReadAddrB] offset:3392 // L -> Reg lro=392 swapByteOffset=0 ti=16 vIdx=2 rIdx=0 oIdx=0 buffer=1 iui=0
_ds_load_b64 v[vgprValuB_X1_I0+6:vgprValuB_X1_I0+6+1], v[vgprLocalReadAddrB] offset:3520 // L -> Reg lro=392 swapByteOffset=0 ti=16 vIdx=3 rIdx=0 oIdx=0 buffer=1 iui=0
_v_add_co_u32  v[vgprGlobalReadAddrA+6+0], vcc, v[vgprGlobalReadAddrA+6+0], v[vgprGlobalReadIncsA+0+0] // gra += incAL (lower)
_v_addc_co_u32 v[vgprGlobalReadAddrA+6+1], vcc, v[vgprGlobalReadAddrA+6+1], v[vgprGlobalReadIncsA+0+1], vcc // gra += incAL (upper)

/* global read inc B loopL */
_v_add_co_u32  v[vgprGlobalReadAddrB+0+0], vcc, v[vgprGlobalReadAddrB+0+0], v[vgprGlobalReadIncsB+0+0] // gra += incBL (lower)
v_mfma_f64_16x16x4f64 v[16+0:23+0], v[vgprValuB_X0_I0+2+0+0:vgprValuB_X0_I0+2+0+0+1], v[vgprValuA_X0_I0+0+0+0:vgprValuA_X0_I0+0+0+0+1], v[16:23]
/*  mfmaIndex:4  */
_ds_load_b64 v[vgprValuB_X1_I0+8:vgprValuB_X1_I0+8+1], v[vgprLocalReadAddrB] offset:3648 // L -> Reg lro=392 swapByteOffset=0 ti=16 vIdx=4 rIdx=0 oIdx=0 buffer=1 iui=0
_ds_load_b64 v[vgprValuB_X1_I0+10:vgprValuB_X1_I0+10+1], v[vgprLocalReadAddrB] offset:3776 // L -> Reg lro=392 swapByteOffset=0 ti=16 vIdx=5 rIdx=0 oIdx=0 buffer=1 iui=0
/* localReadsVacancy: latencyLeft 1 */
_v_addc_co_u32 v[vgprGlobalReadAddrB+0+1], vcc, v[vgprGlobalReadAddrB+0+1], v[vgprGlobalReadIncsB+0+1], vcc // gra += incBL (upper)
_v_add_co_u32  v[vgprGlobalReadAddrB+2+0], vcc, v[vgprGlobalReadAddrB+2+0], v[vgprGlobalReadIncsB+0+0] // gra += incBL (lower)
_v_addc_co_u32 v[vgprGlobalReadAddrB+2+1], vcc, v[vgprGlobalReadAddrB+2+1], v[vgprGlobalReadIncsB+0+1], vcc // gra += incBL (upper)
v_mfma_f64_16x16x4f64 v[32+0:39+0], v[vgprValuB_X0_I0+4+0+0:vgprValuB_X0_I0+4+0+0+1], v[vgprValuA_X0_I0+0+0+0:vgprValuA_X0_I0+0+0+0+1], v[32:39]
/*  mfmaIndex:5  */
/* localReadsVacancy: latencyLeft 5 */
_ds_load_b64 v[vgprValuA_X2_I0+0:vgprValuA_X2_I0+0+1], v[vgprLocalReadAddrA] offset:8320 // L -> Reg lro=1040 swapByteOffset=0 ti=128 vIdx=0 rIdx=0 oIdx=0 buffer=2 iui=0
_ds_load_b64 v[vgprValuB_X2_I0+0:vgprValuB_X2_I0+0+1], v[vgprLocalReadAddrB] offset:6272 // L -> Reg lro=784 swapByteOffset=0 ti=16 vIdx=0 rIdx=0 oIdx=0 buffer=2 iui=0
_v_add_co_u32  v[vgprGlobalReadAddrB+4+0], vcc, v[vgprGlobalReadAddrB+4+0], v[vgprGlobalReadIncsB+0+0] // gra += incBL (lower)
_v_addc_co_u32 v[vgprGlobalReadAddrB+4+1], vcc, v[vgprGlobalReadAddrB+4+1], v[vgprGlobalReadIncsB+0+1], vcc // gra += incBL (upper)
v_mfma_f64_16x16x4f64 v[40+0:47+0], v[vgprValuB_X0_I0+4+0+0:vgprValuB_X0_I0+4+0+0+1], v[vgprValuA_X0_I0+2+0+0:vgprValuA_X0_I0+2+0+0+1], v[40:47]
/*  mfmaIndex:6  */
/* localReadsVacancy: latencyLeft 5 */
_ds_load_b64 v[vgprValuA_X2_I0+2:vgprValuA_X2_I0+2+1], v[vgprLocalReadAddrA] offset:8328 // L -> Reg lro=1040 swapByteOffset=0 ti=128 vIdx=0 rIdx=0 oIdx=0 buffer=2 iui=0
_ds_load_b64 v[vgprValuB_X2_I0+2:vgprValuB_X2_I0+2+1], v[vgprLocalReadAddrB] offset:6400 // L -> Reg lro=784 swapByteOffset=0 ti=16 vIdx=1 rIdx=0 oIdx=0 buffer=2 iui=0
v_mfma_f64_16x16x4f64 v[56+0:63+0], v[vgprValuB_X0_I0+6+0+0:vgprValuB_X0_I0+6+0+0+1], v[vgprValuA_X0_I0+2+0+0:vgprValuA_X0_I0+2+0+0+1], v[56:63]
/*  mfmaIndex:7  */
/* localReadsVacancy: latencyLeft 5 */
_ds_load_b64 v[vgprValuB_X2_I0+4:vgprValuB_X2_I0+4+1], v[vgprLocalReadAddrB] offset:6528 // L -> Reg lro=784 swapByteOffset=0 ti=16 vIdx=2 rIdx=0 oIdx=0 buffer=2 iui=0
_ds_load_b64 v[vgprValuB_X2_I0+6:vgprValuB_X2_I0+6+1], v[vgprLocalReadAddrB] offset:6656 // L -> Reg lro=784 swapByteOffset=0 ti=16 vIdx=3 rIdx=0 oIdx=0 buffer=2 iui=0
v_mfma_f64_16x16x4f64 v[48+0:55+0], v[vgprValuB_X0_I0+6+0+0:vgprValuB_X0_I0+6+0+0+1], v[vgprValuA_X0_I0+0+0+0:vgprValuA_X0_I0+0+0+0+1], v[48:55]
/*  mfmaIndex:8  */
/* localReadsVacancy: latencyLeft 5 */
_ds_load_b64 v[vgprValuB_X2_I0+8:vgprValuB_X2_I0+8+1], v[vgprLocalReadAddrB] offset:6784 // L -> Reg lro=784 swapByteOffset=0 ti=16 vIdx=4 rIdx=0 oIdx=0 buffer=2 iui=0
_ds_load_b64 v[vgprValuB_X2_I0+10:vgprValuB_X2_I0+10+1], v[vgprLocalReadAddrB] offset:6912 // L -> Reg lro=784 swapByteOffset=0 ti=16 vIdx=5 rIdx=0 oIdx=0 buffer=2 iui=0
v_mfma_f64_16x16x4f64 v[64+0:71+0], v[vgprValuB_X0_I0+8+0+0:vgprValuB_X0_I0+8+0+0+1], v[vgprValuA_X0_I0+0+0+0:vgprValuA_X0_I0+0+0+0+1], v[64:71]
/*  mfmaIndex:9  */
/* localReadsVacancy: latencyLeft 5 */
_ds_load_b64 v[vgprValuA_X3_I0+0:vgprValuA_X3_I0+0+1], v[vgprLocalReadAddrA] offset:12480 // L -> Reg lro=1560 swapByteOffset=0 ti=128 vIdx=0 rIdx=0 oIdx=0 buffer=3 iui=0
_ds_load_b64 v[vgprValuB_X3_I0+0:vgprValuB_X3_I0+0+1], v[vgprLocalReadAddrB] offset:9408 // L -> Reg lro=1176 swapByteOffset=0 ti=16 vIdx=0 rIdx=0 oIdx=0 buffer=3 iui=0
v_mfma_f64_16x16x4f64 v[72+0:79+0], v[vgprValuB_X0_I0+8+0+0:vgprValuB_X0_I0+8+0+0+1], v[vgprValuA_X0_I0+2+0+0:vgprValuA_X0_I0+2+0+0+1], v[72:79]
/*  mfmaIndex:10  */
/* localReadsVacancy: latencyLeft 5 */
_ds_load_b64 v[vgprValuA_X3_I0+2:vgprValuA_X3_I0+2+1], v[vgprLocalReadAddrA] offset:12488 // L -> Reg lro=1560 swapByteOffset=0 ti=128 vIdx=0 rIdx=0 oIdx=0 buffer=3 iui=0
_ds_load_b64 v[vgprValuB_X3_I0+2:vgprValuB_X3_I0+2+1], v[vgprLocalReadAddrB] offset:9536 // L -> Reg lro=1176 swapByteOffset=0 ti=16 vIdx=1 rIdx=0 oIdx=0 buffer=3 iui=0
v_mfma_f64_16x16x4f64 v[88+0:95+0], v[vgprValuB_X0_I0+10+0+0:vgprValuB_X0_I0+10+0+0+1], v[vgprValuA_X0_I0+2+0+0:vgprValuA_X0_I0+2+0+0+1], v[88:95]
/*  mfmaIndex:11  */
/* localReadsVacancy: latencyLeft 5 */
_ds_load_b64 v[vgprValuB_X3_I0+4:vgprValuB_X3_I0+4+1], v[vgprLocalReadAddrB] offset:9664 // L -> Reg lro=1176 swapByteOffset=0 ti=16 vIdx=2 rIdx=0 oIdx=0 buffer=3 iui=0
_ds_load_b64 v[vgprValuB_X3_I0+6:vgprValuB_X3_I0+6+1], v[vgprLocalReadAddrB] offset:9792 // L -> Reg lro=1176 swapByteOffset=0 ti=16 vIdx=3 rIdx=0 oIdx=0 buffer=3 iui=0
v_mfma_f64_16x16x4f64 v[80+0:87+0], v[vgprValuB_X0_I0+10+0+0:vgprValuB_X0_I0+10+0+0+1], v[vgprValuA_X0_I0+0+0+0:vgprValuA_X0_I0+0+0+0+1], v[80:87]
/* numPrefetchIter=0 */
/* dataAtIterA=-1 numReadsIterA=1 skipReadsIterA=1 readsPerIterA=2 */
/* dataAtIterB=-1 numReadsIterB=1 skipReadsIterB=1 readsPerIterB=6 */


/* iter 1 */

/*  grEndMfmaIndex:5, lwStartMfmaIndex:16, lwEndMfmaIndex:39  */
/*  numMfmaForLR:6, barrierMfmaIndex:41, LocalWritePerMfma:0.265 */
/*  mfmaIndex:12  */
/* localReadsVacancy: latencyLeft 5 */
_ds_load_b64 v[vgprValuB_X3_I0+8:vgprValuB_X3_I0+8+1], v[vgprLocalReadAddrB] offset:9920 // L -> Reg lro=1176 swapByteOffset=0 ti=16 vIdx=4 rIdx=0 oIdx=0 buffer=3 iui=0
_ds_load_b64 v[vgprValuB_X3_I0+10:vgprValuB_X3_I0+10+1], v[vgprLocalReadAddrB] offset:10048 // L -> Reg lro=1176 swapByteOffset=0 ti=16 vIdx=5 rIdx=0 oIdx=0 buffer=3 iui=0
s_waitcnt lgkmcnt(15)                              // lgkmcnt=0 vmcnt=-1wait for prior local read local write old=8, new=8 newLW=0 newLR=0
v_mfma_f64_16x16x4f64 v[0+0:7+0], v[vgprValuB_X1_I0+0+0+0:vgprValuB_X1_I0+0+0+0+1], v[vgprValuA_X1_I0+0+0+0:vgprValuA_X1_I0+0+0+0+1], v[0:7]
/*  mfmaIndex:13  */
/* localReadsVacancy: latencyLeft 5 */
v_mfma_f64_16x16x4f64 v[8+0:15+0], v[vgprValuB_X1_I0+0+0+0:vgprValuB_X1_I0+0+0+0+1], v[vgprValuA_X1_I0+2+0+0:vgprValuA_X1_I0+2+0+0+1], v[8:15]
/*  mfmaIndex:14  */
/* localReadsVacancy: latencyLeft 5 */
	;; [unrolled: 3-line block ×3, first 2 shown]
/* 1 LDS buffer: read-sync-write */
s_waitcnt lgkmcnt(0)                               // 
s_barrier                                          // 
v_mfma_f64_16x16x4f64 v[16+0:23+0], v[vgprValuB_X1_I0+2+0+0:vgprValuB_X1_I0+2+0+0+1], v[vgprValuA_X1_I0+0+0+0:vgprValuA_X1_I0+0+0+0+1], v[16:23]
/*  mfmaIndex:16  */
s_setprio 3                                        // store optimization
/* sched write - iter 1 writesPerItem=2 */
s_waitcnt vmcnt(0)                                 // lgkmcnt=-1 vmcnt=0wait for global read before writing to local
_ds_store_b64 v[vgprLocalWriteAddrA], v[vgprG2LA+0:vgprG2LA+0+1] offset:0 // lwoA_0_0_0_0 = (0 + 0*LSCA)*(MT0I+PAD) + (0*LSPA) = 0
_ds_store_b64 v[vgprLocalWriteAddrA], v[vgprG2LA+2:vgprG2LA+2+1] offset:1040 // lwoA_0_1_0_0 = (1 + 0*LSCA)*(MT0I+PAD) + (0*LSPA) = 1040
v_mfma_f64_16x16x4f64 v[32+0:39+0], v[vgprValuB_X1_I0+4+0+0:vgprValuB_X1_I0+4+0+0+1], v[vgprValuA_X1_I0+0+0+0:vgprValuA_X1_I0+0+0+0+1], v[32:39]
/*  mfmaIndex:17  */
_global_load_b128 v[vgprG2LA+0:vgprG2LA+0+3], v[vgprGlobalReadAddrA+0:vgprGlobalReadAddrA+0+1], off, offset:0 // G -> Reg 0_0_0_0
v_mfma_f64_16x16x4f64 v[40+0:47+0], v[vgprValuB_X1_I0+4+0+0:vgprValuB_X1_I0+4+0+0+1], v[vgprValuA_X1_I0+2+0+0:vgprValuA_X1_I0+2+0+0+1], v[40:47]
/*  mfmaIndex:18  */
v_mfma_f64_16x16x4f64 v[56+0:63+0], v[vgprValuB_X1_I0+6+0+0:vgprValuB_X1_I0+6+0+0+1], v[vgprValuA_X1_I0+2+0+0:vgprValuA_X1_I0+2+0+0+1], v[56:63]
/*  mfmaIndex:19  */
/* sched write - iter 1 writesPerItem=2 */
s_waitcnt vmcnt(0)                                 // lgkmcnt=-1 vmcnt=0wait for global read before writing to local
_ds_store_b64 v[vgprLocalWriteAddrA], v[vgprG2LA+4:vgprG2LA+4+1] offset:256 // lwoA_0_0_1_0 = (0 + 0*LSCA)*(MT0I+PAD) + (1*LSPA) = 256
_ds_store_b64 v[vgprLocalWriteAddrA], v[vgprG2LA+6:vgprG2LA+6+1] offset:1296 // lwoA_0_1_1_0 = (1 + 0*LSCA)*(MT0I+PAD) + (1*LSPA) = 1296
v_mfma_f64_16x16x4f64 v[48+0:55+0], v[vgprValuB_X1_I0+6+0+0:vgprValuB_X1_I0+6+0+0+1], v[vgprValuA_X1_I0+0+0+0:vgprValuA_X1_I0+0+0+0+1], v[48:55]
/*  mfmaIndex:20  */
_global_load_b128 v[vgprG2LA+4:vgprG2LA+4+3], v[vgprGlobalReadAddrA+2:vgprGlobalReadAddrA+2+1], off, offset:0 // G -> Reg 0_0_1_0
v_mfma_f64_16x16x4f64 v[64+0:71+0], v[vgprValuB_X1_I0+8+0+0:vgprValuB_X1_I0+8+0+0+1], v[vgprValuA_X1_I0+0+0+0:vgprValuA_X1_I0+0+0+0+1], v[64:71]
/*  mfmaIndex:21  */
v_mfma_f64_16x16x4f64 v[72+0:79+0], v[vgprValuB_X1_I0+8+0+0:vgprValuB_X1_I0+8+0+0+1], v[vgprValuA_X1_I0+2+0+0:vgprValuA_X1_I0+2+0+0+1], v[72:79]
/*  mfmaIndex:22  */
	;; [unrolled: 2-line block ×3, first 2 shown]
/* sched write - iter 1 writesPerItem=2 */
s_waitcnt vmcnt(0)                                 // lgkmcnt=-1 vmcnt=0wait for global read before writing to local
_ds_store_b64 v[vgprLocalWriteAddrA], v[vgprG2LA+8:vgprG2LA+8+1] offset:512 // lwoA_0_0_2_0 = (0 + 0*LSCA)*(MT0I+PAD) + (2*LSPA) = 512
_ds_store_b64 v[vgprLocalWriteAddrA], v[vgprG2LA+10:vgprG2LA+10+1] offset:1552 // lwoA_0_1_2_0 = (1 + 0*LSCA)*(MT0I+PAD) + (2*LSPA) = 1552
v_mfma_f64_16x16x4f64 v[80+0:87+0], v[vgprValuB_X1_I0+10+0+0:vgprValuB_X1_I0+10+0+0+1], v[vgprValuA_X1_I0+0+0+0:vgprValuA_X1_I0+0+0+0+1], v[80:87]
/* numPrefetchIter=0 */
/* dataAtIterA=0 numReadsIterA=2 skipReadsIterA=1 readsPerIterA=2 */
/* dataAtIterB=0 numReadsIterB=2 skipReadsIterB=1 readsPerIterB=6 */


/* iter 2 (reset local read pointers iteration)  (swap local read pointers iteration)  */

/*  grEndMfmaIndex:5, lwStartMfmaIndex:16, lwEndMfmaIndex:39  */
/*  numMfmaForLR:6, barrierMfmaIndex:41, LocalWritePerMfma:0.265 */
/*  mfmaIndex:24  */
_global_load_b128 v[vgprG2LA+8:vgprG2LA+8+3], v[vgprGlobalReadAddrA+4:vgprGlobalReadAddrA+4+1], off, offset:0 // G -> Reg 0_0_2_0
v_mfma_f64_16x16x4f64 v[0+0:7+0], v[vgprValuB_X2_I0+0+0+0:vgprValuB_X2_I0+0+0+0+1], v[vgprValuA_X2_I0+0+0+0:vgprValuA_X2_I0+0+0+0+1], v[0:7]
/*  mfmaIndex:25  */
v_mfma_f64_16x16x4f64 v[8+0:15+0], v[vgprValuB_X2_I0+0+0+0:vgprValuB_X2_I0+0+0+0+1], v[vgprValuA_X2_I0+2+0+0:vgprValuA_X2_I0+2+0+0+1], v[8:15]
/*  mfmaIndex:26  */
v_mfma_f64_16x16x4f64 v[24+0:31+0], v[vgprValuB_X2_I0+2+0+0:vgprValuB_X2_I0+2+0+0+1], v[vgprValuA_X2_I0+2+0+0:vgprValuA_X2_I0+2+0+0+1], v[24:31]
/*  mfmaIndex:27  */
/* sched write - iter 2 writesPerItem=2 */
s_waitcnt vmcnt(0)                                 // lgkmcnt=-1 vmcnt=0wait for global read before writing to local
_ds_store_b64 v[vgprLocalWriteAddrA], v[vgprG2LA+12:vgprG2LA+12+1] offset:768 // lwoA_0_0_3_0 = (0 + 0*LSCA)*(MT0I+PAD) + (3*LSPA) = 768
_ds_store_b64 v[vgprLocalWriteAddrA], v[vgprG2LA+14:vgprG2LA+14+1] offset:1808 // lwoA_0_1_3_0 = (1 + 0*LSCA)*(MT0I+PAD) + (3*LSPA) = 1808
v_mfma_f64_16x16x4f64 v[16+0:23+0], v[vgprValuB_X2_I0+2+0+0:vgprValuB_X2_I0+2+0+0+1], v[vgprValuA_X2_I0+0+0+0:vgprValuA_X2_I0+0+0+0+1], v[16:23]
/*  mfmaIndex:28  */
_global_load_b128 v[vgprG2LA+12:vgprG2LA+12+3], v[vgprGlobalReadAddrA+6:vgprGlobalReadAddrA+6+1], off, offset:0 // G -> Reg 0_0_3_0
v_mfma_f64_16x16x4f64 v[32+0:39+0], v[vgprValuB_X2_I0+4+0+0:vgprValuB_X2_I0+4+0+0+1], v[vgprValuA_X2_I0+0+0+0:vgprValuA_X2_I0+0+0+0+1], v[32:39]
/*  mfmaIndex:29  */
v_mfma_f64_16x16x4f64 v[40+0:47+0], v[vgprValuB_X2_I0+4+0+0:vgprValuB_X2_I0+4+0+0+1], v[vgprValuA_X2_I0+2+0+0:vgprValuA_X2_I0+2+0+0+1], v[40:47]
/*  mfmaIndex:30  */
	;; [unrolled: 2-line block ×3, first 2 shown]
/* sched write - iter 2 writesPerItem=2 */
s_waitcnt vmcnt(0)                                 // lgkmcnt=-1 vmcnt=0wait for global read before writing to local
_ds_store_b64 v[vgprLocalWriteAddrB], v[vgprG2LB+0:vgprG2LB+0+1] offset:0 // lwoB_0_0_0_0 = (0 + 0*LSCB)*(MT1J+PAD) + (0*LSPB) = 0
_ds_store_b64 v[vgprLocalWriteAddrB], v[vgprG2LB+2:vgprG2LB+2+1] offset:784 // lwoB_0_1_0_0 = (1 + 0*LSCB)*(MT1J+PAD) + (0*LSPB) = 784
v_mfma_f64_16x16x4f64 v[48+0:55+0], v[vgprValuB_X2_I0+6+0+0:vgprValuB_X2_I0+6+0+0+1], v[vgprValuA_X2_I0+0+0+0:vgprValuA_X2_I0+0+0+0+1], v[48:55]
/*  mfmaIndex:32  */
_global_load_b128 v[vgprG2LB+0:vgprG2LB+0+3], v[vgprGlobalReadAddrB+0:vgprGlobalReadAddrB+0+1], off, offset:0 // G -> Reg 0_0_0_0
v_mfma_f64_16x16x4f64 v[64+0:71+0], v[vgprValuB_X2_I0+8+0+0:vgprValuB_X2_I0+8+0+0+1], v[vgprValuA_X2_I0+0+0+0:vgprValuA_X2_I0+0+0+0+1], v[64:71]
/*  mfmaIndex:33  */
v_mfma_f64_16x16x4f64 v[72+0:79+0], v[vgprValuB_X2_I0+8+0+0:vgprValuB_X2_I0+8+0+0+1], v[vgprValuA_X2_I0+2+0+0:vgprValuA_X2_I0+2+0+0+1], v[72:79]
/*  mfmaIndex:34  */
/* sched write - iter 2 writesPerItem=2 */
s_waitcnt vmcnt(0)                                 // lgkmcnt=-1 vmcnt=0wait for global read before writing to local
_ds_store_b64 v[vgprLocalWriteAddrB], v[vgprG2LB+4:vgprG2LB+4+1] offset:256 // lwoB_0_0_1_0 = (0 + 0*LSCB)*(MT1J+PAD) + (1*LSPB) = 256
_ds_store_b64 v[vgprLocalWriteAddrB], v[vgprG2LB+6:vgprG2LB+6+1] offset:1040 // lwoB_0_1_1_0 = (1 + 0*LSCB)*(MT1J+PAD) + (1*LSPB) = 1040
v_mfma_f64_16x16x4f64 v[88+0:95+0], v[vgprValuB_X2_I0+10+0+0:vgprValuB_X2_I0+10+0+0+1], v[vgprValuA_X2_I0+2+0+0:vgprValuA_X2_I0+2+0+0+1], v[88:95]
/*  mfmaIndex:35  */
_global_load_b128 v[vgprG2LB+4:vgprG2LB+4+3], v[vgprGlobalReadAddrB+2:vgprGlobalReadAddrB+2+1], off, offset:0 // G -> Reg 0_0_1_0

/* local read swap offsets a */

/* local read swap offsets b */

/* local read init pointers a */

/* localReadInitPointers */

/* local read init pointers b */

/* localReadInitPointers */
v_mfma_f64_16x16x4f64 v[80+0:87+0], v[vgprValuB_X2_I0+10+0+0:vgprValuB_X2_I0+10+0+0+1], v[vgprValuA_X2_I0+0+0+0:vgprValuA_X2_I0+0+0+0+1], v[80:87]


/* iter 3 (swap and reset local write pointers iteration)  */

/*  grEndMfmaIndex:5, lwStartMfmaIndex:16, lwEndMfmaIndex:39  */
/*  numMfmaForLR:6, barrierMfmaIndex:41, LocalWritePerMfma:0.265 */
/*  mfmaIndex:36  */
v_mfma_f64_16x16x4f64 v[0+0:7+0], v[vgprValuB_X3_I0+0+0+0:vgprValuB_X3_I0+0+0+0+1], v[vgprValuA_X3_I0+0+0+0:vgprValuA_X3_I0+0+0+0+1], v[0:7]
/*  mfmaIndex:37  */
v_mfma_f64_16x16x4f64 v[8+0:15+0], v[vgprValuB_X3_I0+0+0+0:vgprValuB_X3_I0+0+0+0+1], v[vgprValuA_X3_I0+2+0+0:vgprValuA_X3_I0+2+0+0+1], v[8:15]
/*  mfmaIndex:38  */
/* sched write - iter 3 writesPerItem=2 */
s_waitcnt vmcnt(0)                                 // lgkmcnt=-1 vmcnt=0wait for global read before writing to local
_ds_store_b64 v[vgprLocalWriteAddrB], v[vgprG2LB+8:vgprG2LB+8+1] offset:512 // lwoB_0_0_2_0 = (0 + 0*LSCB)*(MT1J+PAD) + (2*LSPB) = 512
_ds_store_b64 v[vgprLocalWriteAddrB], v[vgprG2LB+10:vgprG2LB+10+1] offset:1296 // lwoB_0_1_2_0 = (1 + 0*LSCB)*(MT1J+PAD) + (2*LSPB) = 1296
v_mfma_f64_16x16x4f64 v[24+0:31+0], v[vgprValuB_X3_I0+2+0+0:vgprValuB_X3_I0+2+0+0+1], v[vgprValuA_X3_I0+2+0+0:vgprValuA_X3_I0+2+0+0+1], v[24:31]
/*  mfmaIndex:39  */
_global_load_b128 v[vgprG2LB+8:vgprG2LB+8+3], v[vgprGlobalReadAddrB+4:vgprGlobalReadAddrB+4+1], off, offset:0 // G -> Reg 0_0_2_0

/* local write swap offsets a */

/* local write swap offsets b */
v_mfma_f64_16x16x4f64 v[16+0:23+0], v[vgprValuB_X3_I0+2+0+0:vgprValuB_X3_I0+2+0+0+1], v[vgprValuA_X3_I0+0+0+0:vgprValuA_X3_I0+0+0+0+1], v[16:23]
/*  mfmaIndex:40  */
v_mfma_f64_16x16x4f64 v[32+0:39+0], v[vgprValuB_X3_I0+4+0+0:vgprValuB_X3_I0+4+0+0+1], v[vgprValuA_X3_I0+0+0+0:vgprValuA_X3_I0+0+0+0+1], v[32:39]
s_setprio 0                                        // store optimization
/*  mfmaIndex:41  */
s_waitcnt lgkmcnt(0)                               // lgkmcnt=0 vmcnt=-13wait for local write
// Skip force waitcnt0
s_barrier //
v_mfma_f64_16x16x4f64 v[40+0:47+0], v[vgprValuB_X3_I0+4+0+0:vgprValuB_X3_I0+4+0+0+1], v[vgprValuA_X3_I0+2+0+0:vgprValuA_X3_I0+2+0+0+1], v[40:47]
/*  mfmaIndex:42  */
s_setprio 3                                        // store optimization
_ds_load_b64 v[vgprValuA_X0_I0+0:vgprValuA_X0_I0+0+1], v[vgprLocalReadAddrA] offset:0 // L -> Reg lro=0 swapByteOffset=0 ti=128 vIdx=0 rIdx=0 oIdx=0 buffer=0 iui=0
_ds_load_b64 v[vgprValuB_X0_I0+0:vgprValuB_X0_I0+0+1], v[vgprLocalReadAddrB] offset:0 // L -> Reg lro=0 swapByteOffset=0 ti=16 vIdx=0 rIdx=0 oIdx=0 buffer=0 iui=0
v_mfma_f64_16x16x4f64 v[56+0:63+0], v[vgprValuB_X3_I0+6+0+0:vgprValuB_X3_I0+6+0+0+1], v[vgprValuA_X3_I0+2+0+0:vgprValuA_X3_I0+2+0+0+1], v[56:63]
/*  mfmaIndex:43  */
_ds_load_b64 v[vgprValuA_X0_I0+2:vgprValuA_X0_I0+2+1], v[vgprLocalReadAddrA] offset:8 // L -> Reg lro=0 swapByteOffset=0 ti=128 vIdx=0 rIdx=0 oIdx=0 buffer=0 iui=0
_ds_load_b64 v[vgprValuB_X0_I0+2:vgprValuB_X0_I0+2+1], v[vgprLocalReadAddrB] offset:128 // L -> Reg lro=0 swapByteOffset=0 ti=16 vIdx=1 rIdx=0 oIdx=0 buffer=0 iui=0
v_mfma_f64_16x16x4f64 v[48+0:55+0], v[vgprValuB_X3_I0+6+0+0:vgprValuB_X3_I0+6+0+0+1], v[vgprValuA_X3_I0+0+0+0:vgprValuA_X3_I0+0+0+0+1], v[48:55]
/*  mfmaIndex:44  */
_ds_load_b64 v[vgprValuB_X0_I0+4:vgprValuB_X0_I0+4+1], v[vgprLocalReadAddrB] offset:256 // L -> Reg lro=0 swapByteOffset=0 ti=16 vIdx=2 rIdx=0 oIdx=0 buffer=0 iui=0
_ds_load_b64 v[vgprValuB_X0_I0+6:vgprValuB_X0_I0+6+1], v[vgprLocalReadAddrB] offset:384 // L -> Reg lro=0 swapByteOffset=0 ti=16 vIdx=3 rIdx=0 oIdx=0 buffer=0 iui=0
v_mfma_f64_16x16x4f64 v[64+0:71+0], v[vgprValuB_X3_I0+8+0+0:vgprValuB_X3_I0+8+0+0+1], v[vgprValuA_X3_I0+0+0+0:vgprValuA_X3_I0+0+0+0+1], v[64:71]
/*  mfmaIndex:45  */
_ds_load_b64 v[vgprValuB_X0_I0+8:vgprValuB_X0_I0+8+1], v[vgprLocalReadAddrB] offset:512 // L -> Reg lro=0 swapByteOffset=0 ti=16 vIdx=4 rIdx=0 oIdx=0 buffer=0 iui=0
_ds_load_b64 v[vgprValuB_X0_I0+10:vgprValuB_X0_I0+10+1], v[vgprLocalReadAddrB] offset:640 // L -> Reg lro=0 swapByteOffset=0 ti=16 vIdx=5 rIdx=0 oIdx=0 buffer=0 iui=0
v_mfma_f64_16x16x4f64 v[72+0:79+0], v[vgprValuB_X3_I0+8+0+0:vgprValuB_X3_I0+8+0+0+1], v[vgprValuA_X3_I0+2+0+0:vgprValuA_X3_I0+2+0+0+1], v[72:79]
/*  mfmaIndex:46  */
v_mfma_f64_16x16x4f64 v[88+0:95+0], v[vgprValuB_X3_I0+10+0+0:vgprValuB_X3_I0+10+0+0+1], v[vgprValuA_X3_I0+2+0+0:vgprValuA_X3_I0+2+0+0+1], v[88:95]
/*  mfmaIndex:47  */
v_mfma_f64_16x16x4f64 v[80+0:87+0], v[vgprValuB_X3_I0+10+0+0:vgprValuB_X3_I0+10+0+0+1], v[vgprValuA_X3_I0+0+0+0:vgprValuA_X3_I0+0+0+0+1], v[80:87]
s_setprio 0                                        // store optimization


/******************************************/
/* Unrolled Loop - End                    */
/******************************************/


/* closeLoop loopL finalLoop=1 tailLoop=0 */
s_sub_u32 s[sgprLoopCounterL], s[sgprLoopCounterL], 1 // dec counterL
s_cmp_eq_i32 s[sgprLoopCounterL], 0x2              // counterL==2
s_cbranch_scc0 LoopBeginL_1                        // restart LoopL
LoopEndL_2:


/* Before NLL: Check VGPR.checkin for INT8 LW */


/******************************************/
/* Ord. NoGlobalLoadLoop - Begin                                      */
/******************************************/


	;; [unrolled: 1-line block ×3, first 2 shown]
/* iter 0 */

/*  grEndMfmaIndex:5, lwStartMfmaIndex:16, lwEndMfmaIndex:39  */
/*  numMfmaForLR:6, barrierMfmaIndex:41, LocalWritePerMfma:0.265 */
/*  mfmaIndex:0  */
s_waitcnt lgkmcnt(0)                               // lgkmcnt=0 vmcnt=-1wait for prior local read local write old=0, new=0 newLW=0 newLR=0
v_mfma_f64_16x16x4f64 v[0+0:7+0], v[vgprValuB_X0_I0+0+0+0:vgprValuB_X0_I0+0+0+0+1], v[vgprValuA_X0_I0+0+0+0:vgprValuA_X0_I0+0+0+0+1], v[0:7]
/*  mfmaIndex:1  */
_ds_load_b64 v[vgprValuA_X1_I0+0:vgprValuA_X1_I0+0+1], v[vgprLocalReadAddrA] offset:4160 // L -> Reg lro=520 swapByteOffset=0 ti=128 vIdx=0 rIdx=0 oIdx=0 buffer=1 iui=0
_ds_load_b64 v[vgprValuB_X1_I0+0:vgprValuB_X1_I0+0+1], v[vgprLocalReadAddrB] offset:3136 // L -> Reg lro=392 swapByteOffset=0 ti=16 vIdx=0 rIdx=0 oIdx=0 buffer=1 iui=0

/* global read inc A loopL */
_v_add_co_u32  v[vgprGlobalReadAddrA+0+0], vcc, v[vgprGlobalReadAddrA+0+0], v[vgprGlobalReadIncsA+0+0] // gra += incAL (lower)
_v_addc_co_u32 v[vgprGlobalReadAddrA+0+1], vcc, v[vgprGlobalReadAddrA+0+1], v[vgprGlobalReadIncsA+0+1], vcc // gra += incAL (upper)
_v_add_co_u32  v[vgprGlobalReadAddrA+2+0], vcc, v[vgprGlobalReadAddrA+2+0], v[vgprGlobalReadIncsA+0+0] // gra += incAL (lower)
v_mfma_f64_16x16x4f64 v[8+0:15+0], v[vgprValuB_X0_I0+0+0+0:vgprValuB_X0_I0+0+0+0+1], v[vgprValuA_X0_I0+2+0+0:vgprValuA_X0_I0+2+0+0+1], v[8:15]
/*  mfmaIndex:2  */
_ds_load_b64 v[vgprValuA_X1_I0+2:vgprValuA_X1_I0+2+1], v[vgprLocalReadAddrA] offset:4168 // L -> Reg lro=520 swapByteOffset=0 ti=128 vIdx=0 rIdx=0 oIdx=0 buffer=1 iui=0
_ds_load_b64 v[vgprValuB_X1_I0+2:vgprValuB_X1_I0+2+1], v[vgprLocalReadAddrB] offset:3264 // L -> Reg lro=392 swapByteOffset=0 ti=16 vIdx=1 rIdx=0 oIdx=0 buffer=1 iui=0
_v_addc_co_u32 v[vgprGlobalReadAddrA+2+1], vcc, v[vgprGlobalReadAddrA+2+1], v[vgprGlobalReadIncsA+0+1], vcc // gra += incAL (upper)
_v_add_co_u32  v[vgprGlobalReadAddrA+4+0], vcc, v[vgprGlobalReadAddrA+4+0], v[vgprGlobalReadIncsA+0+0] // gra += incAL (lower)
_v_addc_co_u32 v[vgprGlobalReadAddrA+4+1], vcc, v[vgprGlobalReadAddrA+4+1], v[vgprGlobalReadIncsA+0+1], vcc // gra += incAL (upper)
v_mfma_f64_16x16x4f64 v[24+0:31+0], v[vgprValuB_X0_I0+2+0+0:vgprValuB_X0_I0+2+0+0+1], v[vgprValuA_X0_I0+2+0+0:vgprValuA_X0_I0+2+0+0+1], v[24:31]
/*  mfmaIndex:3  */
_ds_load_b64 v[vgprValuB_X1_I0+4:vgprValuB_X1_I0+4+1], v[vgprLocalReadAddrB] offset:3392 // L -> Reg lro=392 swapByteOffset=0 ti=16 vIdx=2 rIdx=0 oIdx=0 buffer=1 iui=0
_ds_load_b64 v[vgprValuB_X1_I0+6:vgprValuB_X1_I0+6+1], v[vgprLocalReadAddrB] offset:3520 // L -> Reg lro=392 swapByteOffset=0 ti=16 vIdx=3 rIdx=0 oIdx=0 buffer=1 iui=0
_v_add_co_u32  v[vgprGlobalReadAddrA+6+0], vcc, v[vgprGlobalReadAddrA+6+0], v[vgprGlobalReadIncsA+0+0] // gra += incAL (lower)
_v_addc_co_u32 v[vgprGlobalReadAddrA+6+1], vcc, v[vgprGlobalReadAddrA+6+1], v[vgprGlobalReadIncsA+0+1], vcc // gra += incAL (upper)

/* global read inc B loopL */
_v_add_co_u32  v[vgprGlobalReadAddrB+0+0], vcc, v[vgprGlobalReadAddrB+0+0], v[vgprGlobalReadIncsB+0+0] // gra += incBL (lower)
v_mfma_f64_16x16x4f64 v[16+0:23+0], v[vgprValuB_X0_I0+2+0+0:vgprValuB_X0_I0+2+0+0+1], v[vgprValuA_X0_I0+0+0+0:vgprValuA_X0_I0+0+0+0+1], v[16:23]
/*  mfmaIndex:4  */
_ds_load_b64 v[vgprValuB_X1_I0+8:vgprValuB_X1_I0+8+1], v[vgprLocalReadAddrB] offset:3648 // L -> Reg lro=392 swapByteOffset=0 ti=16 vIdx=4 rIdx=0 oIdx=0 buffer=1 iui=0
_ds_load_b64 v[vgprValuB_X1_I0+10:vgprValuB_X1_I0+10+1], v[vgprLocalReadAddrB] offset:3776 // L -> Reg lro=392 swapByteOffset=0 ti=16 vIdx=5 rIdx=0 oIdx=0 buffer=1 iui=0
/* localReadsVacancy: latencyLeft 1 */
_v_addc_co_u32 v[vgprGlobalReadAddrB+0+1], vcc, v[vgprGlobalReadAddrB+0+1], v[vgprGlobalReadIncsB+0+1], vcc // gra += incBL (upper)
_v_add_co_u32  v[vgprGlobalReadAddrB+2+0], vcc, v[vgprGlobalReadAddrB+2+0], v[vgprGlobalReadIncsB+0+0] // gra += incBL (lower)
_v_addc_co_u32 v[vgprGlobalReadAddrB+2+1], vcc, v[vgprGlobalReadAddrB+2+1], v[vgprGlobalReadIncsB+0+1], vcc // gra += incBL (upper)
v_mfma_f64_16x16x4f64 v[32+0:39+0], v[vgprValuB_X0_I0+4+0+0:vgprValuB_X0_I0+4+0+0+1], v[vgprValuA_X0_I0+0+0+0:vgprValuA_X0_I0+0+0+0+1], v[32:39]
/*  mfmaIndex:5  */
/* localReadsVacancy: latencyLeft 5 */
_ds_load_b64 v[vgprValuA_X2_I0+0:vgprValuA_X2_I0+0+1], v[vgprLocalReadAddrA] offset:8320 // L -> Reg lro=1040 swapByteOffset=0 ti=128 vIdx=0 rIdx=0 oIdx=0 buffer=2 iui=0
_ds_load_b64 v[vgprValuB_X2_I0+0:vgprValuB_X2_I0+0+1], v[vgprLocalReadAddrB] offset:6272 // L -> Reg lro=784 swapByteOffset=0 ti=16 vIdx=0 rIdx=0 oIdx=0 buffer=2 iui=0
_v_add_co_u32  v[vgprGlobalReadAddrB+4+0], vcc, v[vgprGlobalReadAddrB+4+0], v[vgprGlobalReadIncsB+0+0] // gra += incBL (lower)
_v_addc_co_u32 v[vgprGlobalReadAddrB+4+1], vcc, v[vgprGlobalReadAddrB+4+1], v[vgprGlobalReadIncsB+0+1], vcc // gra += incBL (upper)
v_mfma_f64_16x16x4f64 v[40+0:47+0], v[vgprValuB_X0_I0+4+0+0:vgprValuB_X0_I0+4+0+0+1], v[vgprValuA_X0_I0+2+0+0:vgprValuA_X0_I0+2+0+0+1], v[40:47]
/*  mfmaIndex:6  */
/* localReadsVacancy: latencyLeft 5 */
_ds_load_b64 v[vgprValuA_X2_I0+2:vgprValuA_X2_I0+2+1], v[vgprLocalReadAddrA] offset:8328 // L -> Reg lro=1040 swapByteOffset=0 ti=128 vIdx=0 rIdx=0 oIdx=0 buffer=2 iui=0
_ds_load_b64 v[vgprValuB_X2_I0+2:vgprValuB_X2_I0+2+1], v[vgprLocalReadAddrB] offset:6400 // L -> Reg lro=784 swapByteOffset=0 ti=16 vIdx=1 rIdx=0 oIdx=0 buffer=2 iui=0
v_mfma_f64_16x16x4f64 v[56+0:63+0], v[vgprValuB_X0_I0+6+0+0:vgprValuB_X0_I0+6+0+0+1], v[vgprValuA_X0_I0+2+0+0:vgprValuA_X0_I0+2+0+0+1], v[56:63]
/*  mfmaIndex:7  */
/* localReadsVacancy: latencyLeft 5 */
_ds_load_b64 v[vgprValuB_X2_I0+4:vgprValuB_X2_I0+4+1], v[vgprLocalReadAddrB] offset:6528 // L -> Reg lro=784 swapByteOffset=0 ti=16 vIdx=2 rIdx=0 oIdx=0 buffer=2 iui=0
_ds_load_b64 v[vgprValuB_X2_I0+6:vgprValuB_X2_I0+6+1], v[vgprLocalReadAddrB] offset:6656 // L -> Reg lro=784 swapByteOffset=0 ti=16 vIdx=3 rIdx=0 oIdx=0 buffer=2 iui=0
v_mfma_f64_16x16x4f64 v[48+0:55+0], v[vgprValuB_X0_I0+6+0+0:vgprValuB_X0_I0+6+0+0+1], v[vgprValuA_X0_I0+0+0+0:vgprValuA_X0_I0+0+0+0+1], v[48:55]
/*  mfmaIndex:8  */
/* localReadsVacancy: latencyLeft 5 */
_ds_load_b64 v[vgprValuB_X2_I0+8:vgprValuB_X2_I0+8+1], v[vgprLocalReadAddrB] offset:6784 // L -> Reg lro=784 swapByteOffset=0 ti=16 vIdx=4 rIdx=0 oIdx=0 buffer=2 iui=0
_ds_load_b64 v[vgprValuB_X2_I0+10:vgprValuB_X2_I0+10+1], v[vgprLocalReadAddrB] offset:6912 // L -> Reg lro=784 swapByteOffset=0 ti=16 vIdx=5 rIdx=0 oIdx=0 buffer=2 iui=0
v_mfma_f64_16x16x4f64 v[64+0:71+0], v[vgprValuB_X0_I0+8+0+0:vgprValuB_X0_I0+8+0+0+1], v[vgprValuA_X0_I0+0+0+0:vgprValuA_X0_I0+0+0+0+1], v[64:71]
/*  mfmaIndex:9  */
/* localReadsVacancy: latencyLeft 5 */
_ds_load_b64 v[vgprValuA_X3_I0+0:vgprValuA_X3_I0+0+1], v[vgprLocalReadAddrA] offset:12480 // L -> Reg lro=1560 swapByteOffset=0 ti=128 vIdx=0 rIdx=0 oIdx=0 buffer=3 iui=0
_ds_load_b64 v[vgprValuB_X3_I0+0:vgprValuB_X3_I0+0+1], v[vgprLocalReadAddrB] offset:9408 // L -> Reg lro=1176 swapByteOffset=0 ti=16 vIdx=0 rIdx=0 oIdx=0 buffer=3 iui=0
v_mfma_f64_16x16x4f64 v[72+0:79+0], v[vgprValuB_X0_I0+8+0+0:vgprValuB_X0_I0+8+0+0+1], v[vgprValuA_X0_I0+2+0+0:vgprValuA_X0_I0+2+0+0+1], v[72:79]
/*  mfmaIndex:10  */
/* localReadsVacancy: latencyLeft 5 */
_ds_load_b64 v[vgprValuA_X3_I0+2:vgprValuA_X3_I0+2+1], v[vgprLocalReadAddrA] offset:12488 // L -> Reg lro=1560 swapByteOffset=0 ti=128 vIdx=0 rIdx=0 oIdx=0 buffer=3 iui=0
_ds_load_b64 v[vgprValuB_X3_I0+2:vgprValuB_X3_I0+2+1], v[vgprLocalReadAddrB] offset:9536 // L -> Reg lro=1176 swapByteOffset=0 ti=16 vIdx=1 rIdx=0 oIdx=0 buffer=3 iui=0
v_mfma_f64_16x16x4f64 v[88+0:95+0], v[vgprValuB_X0_I0+10+0+0:vgprValuB_X0_I0+10+0+0+1], v[vgprValuA_X0_I0+2+0+0:vgprValuA_X0_I0+2+0+0+1], v[88:95]
/*  mfmaIndex:11  */
/* localReadsVacancy: latencyLeft 5 */
_ds_load_b64 v[vgprValuB_X3_I0+4:vgprValuB_X3_I0+4+1], v[vgprLocalReadAddrB] offset:9664 // L -> Reg lro=1176 swapByteOffset=0 ti=16 vIdx=2 rIdx=0 oIdx=0 buffer=3 iui=0
_ds_load_b64 v[vgprValuB_X3_I0+6:vgprValuB_X3_I0+6+1], v[vgprLocalReadAddrB] offset:9792 // L -> Reg lro=1176 swapByteOffset=0 ti=16 vIdx=3 rIdx=0 oIdx=0 buffer=3 iui=0
v_mfma_f64_16x16x4f64 v[80+0:87+0], v[vgprValuB_X0_I0+10+0+0:vgprValuB_X0_I0+10+0+0+1], v[vgprValuA_X0_I0+0+0+0:vgprValuA_X0_I0+0+0+0+1], v[80:87]
/* numPrefetchIter=0 */
/* dataAtIterA=-1 numReadsIterA=1 skipReadsIterA=1 readsPerIterA=2 */
/* dataAtIterB=-1 numReadsIterB=1 skipReadsIterB=1 readsPerIterB=6 */


/* iter 1 */

/*  grEndMfmaIndex:5, lwStartMfmaIndex:16, lwEndMfmaIndex:39  */
/*  numMfmaForLR:6, barrierMfmaIndex:41, LocalWritePerMfma:0.265 */
/*  mfmaIndex:12  */
/* localReadsVacancy: latencyLeft 5 */
_ds_load_b64 v[vgprValuB_X3_I0+8:vgprValuB_X3_I0+8+1], v[vgprLocalReadAddrB] offset:9920 // L -> Reg lro=1176 swapByteOffset=0 ti=16 vIdx=4 rIdx=0 oIdx=0 buffer=3 iui=0
_ds_load_b64 v[vgprValuB_X3_I0+10:vgprValuB_X3_I0+10+1], v[vgprLocalReadAddrB] offset:10048 // L -> Reg lro=1176 swapByteOffset=0 ti=16 vIdx=5 rIdx=0 oIdx=0 buffer=3 iui=0
s_waitcnt lgkmcnt(15)                              // lgkmcnt=0 vmcnt=-1wait for prior local read local write old=8, new=8 newLW=0 newLR=0
v_mfma_f64_16x16x4f64 v[0+0:7+0], v[vgprValuB_X1_I0+0+0+0:vgprValuB_X1_I0+0+0+0+1], v[vgprValuA_X1_I0+0+0+0:vgprValuA_X1_I0+0+0+0+1], v[0:7]
/*  mfmaIndex:13  */
/* localReadsVacancy: latencyLeft 5 */
v_mfma_f64_16x16x4f64 v[8+0:15+0], v[vgprValuB_X1_I0+0+0+0:vgprValuB_X1_I0+0+0+0+1], v[vgprValuA_X1_I0+2+0+0:vgprValuA_X1_I0+2+0+0+1], v[8:15]
/*  mfmaIndex:14  */
/* localReadsVacancy: latencyLeft 5 */
	;; [unrolled: 3-line block ×3, first 2 shown]
/* 1 LDS buffer: read-sync-write */
s_waitcnt lgkmcnt(0)                               // 
s_barrier                                          // 
v_mfma_f64_16x16x4f64 v[16+0:23+0], v[vgprValuB_X1_I0+2+0+0:vgprValuB_X1_I0+2+0+0+1], v[vgprValuA_X1_I0+0+0+0:vgprValuA_X1_I0+0+0+0+1], v[16:23]
/*  mfmaIndex:16  */
s_setprio 3                                        // store optimization
/* sched write - iter 1 writesPerItem=2 */
s_waitcnt vmcnt(0)                                 // lgkmcnt=-1 vmcnt=0wait for global read before writing to local
_ds_store_b64 v[vgprLocalWriteAddrA], v[vgprG2LA+0:vgprG2LA+0+1] offset:0 // lwoA_0_0_0_0 = (0 + 0*LSCA)*(MT0I+PAD) + (0*LSPA) = 0
_ds_store_b64 v[vgprLocalWriteAddrA], v[vgprG2LA+2:vgprG2LA+2+1] offset:1040 // lwoA_0_1_0_0 = (1 + 0*LSCA)*(MT0I+PAD) + (0*LSPA) = 1040
v_mfma_f64_16x16x4f64 v[32+0:39+0], v[vgprValuB_X1_I0+4+0+0:vgprValuB_X1_I0+4+0+0+1], v[vgprValuA_X1_I0+0+0+0:vgprValuA_X1_I0+0+0+0+1], v[32:39]
/*  mfmaIndex:17  */
v_mfma_f64_16x16x4f64 v[40+0:47+0], v[vgprValuB_X1_I0+4+0+0:vgprValuB_X1_I0+4+0+0+1], v[vgprValuA_X1_I0+2+0+0:vgprValuA_X1_I0+2+0+0+1], v[40:47]
/*  mfmaIndex:18  */
	;; [unrolled: 2-line block ×3, first 2 shown]
/* sched write - iter 1 writesPerItem=2 */
s_waitcnt vmcnt(0)                                 // lgkmcnt=-1 vmcnt=0wait for global read before writing to local
_ds_store_b64 v[vgprLocalWriteAddrA], v[vgprG2LA+4:vgprG2LA+4+1] offset:256 // lwoA_0_0_1_0 = (0 + 0*LSCA)*(MT0I+PAD) + (1*LSPA) = 256
_ds_store_b64 v[vgprLocalWriteAddrA], v[vgprG2LA+6:vgprG2LA+6+1] offset:1296 // lwoA_0_1_1_0 = (1 + 0*LSCA)*(MT0I+PAD) + (1*LSPA) = 1296
v_mfma_f64_16x16x4f64 v[48+0:55+0], v[vgprValuB_X1_I0+6+0+0:vgprValuB_X1_I0+6+0+0+1], v[vgprValuA_X1_I0+0+0+0:vgprValuA_X1_I0+0+0+0+1], v[48:55]
/*  mfmaIndex:20  */
v_mfma_f64_16x16x4f64 v[64+0:71+0], v[vgprValuB_X1_I0+8+0+0:vgprValuB_X1_I0+8+0+0+1], v[vgprValuA_X1_I0+0+0+0:vgprValuA_X1_I0+0+0+0+1], v[64:71]
/*  mfmaIndex:21  */
	;; [unrolled: 2-line block ×4, first 2 shown]
/* sched write - iter 1 writesPerItem=2 */
s_waitcnt vmcnt(0)                                 // lgkmcnt=-1 vmcnt=0wait for global read before writing to local
_ds_store_b64 v[vgprLocalWriteAddrA], v[vgprG2LA+8:vgprG2LA+8+1] offset:512 // lwoA_0_0_2_0 = (0 + 0*LSCA)*(MT0I+PAD) + (2*LSPA) = 512
_ds_store_b64 v[vgprLocalWriteAddrA], v[vgprG2LA+10:vgprG2LA+10+1] offset:1552 // lwoA_0_1_2_0 = (1 + 0*LSCA)*(MT0I+PAD) + (2*LSPA) = 1552
v_mfma_f64_16x16x4f64 v[80+0:87+0], v[vgprValuB_X1_I0+10+0+0:vgprValuB_X1_I0+10+0+0+1], v[vgprValuA_X1_I0+0+0+0:vgprValuA_X1_I0+0+0+0+1], v[80:87]
/* numPrefetchIter=0 */
/* dataAtIterA=0 numReadsIterA=2 skipReadsIterA=1 readsPerIterA=2 */
/* dataAtIterB=0 numReadsIterB=2 skipReadsIterB=1 readsPerIterB=6 */


/* iter 2 (reset local read pointers iteration)  (swap local read pointers iteration)  */

/*  grEndMfmaIndex:5, lwStartMfmaIndex:16, lwEndMfmaIndex:39  */
/*  numMfmaForLR:6, barrierMfmaIndex:41, LocalWritePerMfma:0.265 */
/*  mfmaIndex:24  */
v_mfma_f64_16x16x4f64 v[0+0:7+0], v[vgprValuB_X2_I0+0+0+0:vgprValuB_X2_I0+0+0+0+1], v[vgprValuA_X2_I0+0+0+0:vgprValuA_X2_I0+0+0+0+1], v[0:7]
/*  mfmaIndex:25  */
v_mfma_f64_16x16x4f64 v[8+0:15+0], v[vgprValuB_X2_I0+0+0+0:vgprValuB_X2_I0+0+0+0+1], v[vgprValuA_X2_I0+2+0+0:vgprValuA_X2_I0+2+0+0+1], v[8:15]
	;; [unrolled: 2-line block ×3, first 2 shown]
/*  mfmaIndex:27  */
/* sched write - iter 2 writesPerItem=2 */
s_waitcnt vmcnt(0)                                 // lgkmcnt=-1 vmcnt=0wait for global read before writing to local
_ds_store_b64 v[vgprLocalWriteAddrA], v[vgprG2LA+12:vgprG2LA+12+1] offset:768 // lwoA_0_0_3_0 = (0 + 0*LSCA)*(MT0I+PAD) + (3*LSPA) = 768
_ds_store_b64 v[vgprLocalWriteAddrA], v[vgprG2LA+14:vgprG2LA+14+1] offset:1808 // lwoA_0_1_3_0 = (1 + 0*LSCA)*(MT0I+PAD) + (3*LSPA) = 1808
v_mfma_f64_16x16x4f64 v[16+0:23+0], v[vgprValuB_X2_I0+2+0+0:vgprValuB_X2_I0+2+0+0+1], v[vgprValuA_X2_I0+0+0+0:vgprValuA_X2_I0+0+0+0+1], v[16:23]
/*  mfmaIndex:28  */
v_mfma_f64_16x16x4f64 v[32+0:39+0], v[vgprValuB_X2_I0+4+0+0:vgprValuB_X2_I0+4+0+0+1], v[vgprValuA_X2_I0+0+0+0:vgprValuA_X2_I0+0+0+0+1], v[32:39]
/*  mfmaIndex:29  */
	;; [unrolled: 2-line block ×4, first 2 shown]
/* sched write - iter 2 writesPerItem=2 */
s_waitcnt vmcnt(0)                                 // lgkmcnt=-1 vmcnt=0wait for global read before writing to local
_ds_store_b64 v[vgprLocalWriteAddrB], v[vgprG2LB+0:vgprG2LB+0+1] offset:0 // lwoB_0_0_0_0 = (0 + 0*LSCB)*(MT1J+PAD) + (0*LSPB) = 0
_ds_store_b64 v[vgprLocalWriteAddrB], v[vgprG2LB+2:vgprG2LB+2+1] offset:784 // lwoB_0_1_0_0 = (1 + 0*LSCB)*(MT1J+PAD) + (0*LSPB) = 784
v_mfma_f64_16x16x4f64 v[48+0:55+0], v[vgprValuB_X2_I0+6+0+0:vgprValuB_X2_I0+6+0+0+1], v[vgprValuA_X2_I0+0+0+0:vgprValuA_X2_I0+0+0+0+1], v[48:55]
/*  mfmaIndex:32  */
v_mfma_f64_16x16x4f64 v[64+0:71+0], v[vgprValuB_X2_I0+8+0+0:vgprValuB_X2_I0+8+0+0+1], v[vgprValuA_X2_I0+0+0+0:vgprValuA_X2_I0+0+0+0+1], v[64:71]
/*  mfmaIndex:33  */
	;; [unrolled: 2-line block ×3, first 2 shown]
/* sched write - iter 2 writesPerItem=2 */
s_waitcnt vmcnt(0)                                 // lgkmcnt=-1 vmcnt=0wait for global read before writing to local
_ds_store_b64 v[vgprLocalWriteAddrB], v[vgprG2LB+4:vgprG2LB+4+1] offset:256 // lwoB_0_0_1_0 = (0 + 0*LSCB)*(MT1J+PAD) + (1*LSPB) = 256
_ds_store_b64 v[vgprLocalWriteAddrB], v[vgprG2LB+6:vgprG2LB+6+1] offset:1040 // lwoB_0_1_1_0 = (1 + 0*LSCB)*(MT1J+PAD) + (1*LSPB) = 1040
v_mfma_f64_16x16x4f64 v[88+0:95+0], v[vgprValuB_X2_I0+10+0+0:vgprValuB_X2_I0+10+0+0+1], v[vgprValuA_X2_I0+2+0+0:vgprValuA_X2_I0+2+0+0+1], v[88:95]
/*  mfmaIndex:35  */

/* local read swap offsets a */

/* local read swap offsets b */

/* local read init pointers a */

/* localReadInitPointers */

/* local read init pointers b */

/* localReadInitPointers */
v_mfma_f64_16x16x4f64 v[80+0:87+0], v[vgprValuB_X2_I0+10+0+0:vgprValuB_X2_I0+10+0+0+1], v[vgprValuA_X2_I0+0+0+0:vgprValuA_X2_I0+0+0+0+1], v[80:87]


/* iter 3 (swap and reset local write pointers iteration)  */

/*  grEndMfmaIndex:5, lwStartMfmaIndex:16, lwEndMfmaIndex:39  */
/*  numMfmaForLR:6, barrierMfmaIndex:41, LocalWritePerMfma:0.265 */
/*  mfmaIndex:36  */
v_mfma_f64_16x16x4f64 v[0+0:7+0], v[vgprValuB_X3_I0+0+0+0:vgprValuB_X3_I0+0+0+0+1], v[vgprValuA_X3_I0+0+0+0:vgprValuA_X3_I0+0+0+0+1], v[0:7]
/*  mfmaIndex:37  */
v_mfma_f64_16x16x4f64 v[8+0:15+0], v[vgprValuB_X3_I0+0+0+0:vgprValuB_X3_I0+0+0+0+1], v[vgprValuA_X3_I0+2+0+0:vgprValuA_X3_I0+2+0+0+1], v[8:15]
/*  mfmaIndex:38  */
/* sched write - iter 3 writesPerItem=2 */
s_waitcnt vmcnt(0)                                 // lgkmcnt=-1 vmcnt=0wait for global read before writing to local
_ds_store_b64 v[vgprLocalWriteAddrB], v[vgprG2LB+8:vgprG2LB+8+1] offset:512 // lwoB_0_0_2_0 = (0 + 0*LSCB)*(MT1J+PAD) + (2*LSPB) = 512
_ds_store_b64 v[vgprLocalWriteAddrB], v[vgprG2LB+10:vgprG2LB+10+1] offset:1296 // lwoB_0_1_2_0 = (1 + 0*LSCB)*(MT1J+PAD) + (2*LSPB) = 1296
v_mfma_f64_16x16x4f64 v[24+0:31+0], v[vgprValuB_X3_I0+2+0+0:vgprValuB_X3_I0+2+0+0+1], v[vgprValuA_X3_I0+2+0+0:vgprValuA_X3_I0+2+0+0+1], v[24:31]
/*  mfmaIndex:39  */

/* local write swap offsets a */

/* local write swap offsets b */
v_mfma_f64_16x16x4f64 v[16+0:23+0], v[vgprValuB_X3_I0+2+0+0:vgprValuB_X3_I0+2+0+0+1], v[vgprValuA_X3_I0+0+0+0:vgprValuA_X3_I0+0+0+0+1], v[16:23]
/*  mfmaIndex:40  */
v_mfma_f64_16x16x4f64 v[32+0:39+0], v[vgprValuB_X3_I0+4+0+0:vgprValuB_X3_I0+4+0+0+1], v[vgprValuA_X3_I0+0+0+0:vgprValuA_X3_I0+0+0+0+1], v[32:39]
s_setprio 0                                        // store optimization
/*  mfmaIndex:41  */
s_waitcnt lgkmcnt(0)                               // lgkmcnt=0 vmcnt=-13wait for local write
// Skip force waitcnt0
s_barrier //
v_mfma_f64_16x16x4f64 v[40+0:47+0], v[vgprValuB_X3_I0+4+0+0:vgprValuB_X3_I0+4+0+0+1], v[vgprValuA_X3_I0+2+0+0:vgprValuA_X3_I0+2+0+0+1], v[40:47]
/*  mfmaIndex:42  */
s_setprio 3                                        // store optimization
_ds_load_b64 v[vgprValuA_X0_I0+0:vgprValuA_X0_I0+0+1], v[vgprLocalReadAddrA] offset:0 // L -> Reg lro=0 swapByteOffset=0 ti=128 vIdx=0 rIdx=0 oIdx=0 buffer=0 iui=0
_ds_load_b64 v[vgprValuB_X0_I0+0:vgprValuB_X0_I0+0+1], v[vgprLocalReadAddrB] offset:0 // L -> Reg lro=0 swapByteOffset=0 ti=16 vIdx=0 rIdx=0 oIdx=0 buffer=0 iui=0
v_mfma_f64_16x16x4f64 v[56+0:63+0], v[vgprValuB_X3_I0+6+0+0:vgprValuB_X3_I0+6+0+0+1], v[vgprValuA_X3_I0+2+0+0:vgprValuA_X3_I0+2+0+0+1], v[56:63]
/*  mfmaIndex:43  */
_ds_load_b64 v[vgprValuA_X0_I0+2:vgprValuA_X0_I0+2+1], v[vgprLocalReadAddrA] offset:8 // L -> Reg lro=0 swapByteOffset=0 ti=128 vIdx=0 rIdx=0 oIdx=0 buffer=0 iui=0
_ds_load_b64 v[vgprValuB_X0_I0+2:vgprValuB_X0_I0+2+1], v[vgprLocalReadAddrB] offset:128 // L -> Reg lro=0 swapByteOffset=0 ti=16 vIdx=1 rIdx=0 oIdx=0 buffer=0 iui=0
v_mfma_f64_16x16x4f64 v[48+0:55+0], v[vgprValuB_X3_I0+6+0+0:vgprValuB_X3_I0+6+0+0+1], v[vgprValuA_X3_I0+0+0+0:vgprValuA_X3_I0+0+0+0+1], v[48:55]
/*  mfmaIndex:44  */
_ds_load_b64 v[vgprValuB_X0_I0+4:vgprValuB_X0_I0+4+1], v[vgprLocalReadAddrB] offset:256 // L -> Reg lro=0 swapByteOffset=0 ti=16 vIdx=2 rIdx=0 oIdx=0 buffer=0 iui=0
_ds_load_b64 v[vgprValuB_X0_I0+6:vgprValuB_X0_I0+6+1], v[vgprLocalReadAddrB] offset:384 // L -> Reg lro=0 swapByteOffset=0 ti=16 vIdx=3 rIdx=0 oIdx=0 buffer=0 iui=0
v_mfma_f64_16x16x4f64 v[64+0:71+0], v[vgprValuB_X3_I0+8+0+0:vgprValuB_X3_I0+8+0+0+1], v[vgprValuA_X3_I0+0+0+0:vgprValuA_X3_I0+0+0+0+1], v[64:71]
/*  mfmaIndex:45  */
_ds_load_b64 v[vgprValuB_X0_I0+8:vgprValuB_X0_I0+8+1], v[vgprLocalReadAddrB] offset:512 // L -> Reg lro=0 swapByteOffset=0 ti=16 vIdx=4 rIdx=0 oIdx=0 buffer=0 iui=0
_ds_load_b64 v[vgprValuB_X0_I0+10:vgprValuB_X0_I0+10+1], v[vgprLocalReadAddrB] offset:640 // L -> Reg lro=0 swapByteOffset=0 ti=16 vIdx=5 rIdx=0 oIdx=0 buffer=0 iui=0
v_mfma_f64_16x16x4f64 v[72+0:79+0], v[vgprValuB_X3_I0+8+0+0:vgprValuB_X3_I0+8+0+0+1], v[vgprValuA_X3_I0+2+0+0:vgprValuA_X3_I0+2+0+0+1], v[72:79]
/*  mfmaIndex:46  */
v_mfma_f64_16x16x4f64 v[88+0:95+0], v[vgprValuB_X3_I0+10+0+0:vgprValuB_X3_I0+10+0+0+1], v[vgprValuA_X3_I0+2+0+0:vgprValuA_X3_I0+2+0+0+1], v[88:95]
/*  mfmaIndex:47  */
v_mfma_f64_16x16x4f64 v[80+0:87+0], v[vgprValuB_X3_I0+10+0+0:vgprValuB_X3_I0+10+0+0+1], v[vgprValuA_X3_I0+0+0+0:vgprValuA_X3_I0+0+0+0+1], v[80:87]
s_setprio 0                                        // store optimization

label_0016:


/******************************************/
/* Ord. NoLoadLoop - Begin                                      */
/******************************************/


	;; [unrolled: 1-line block ×4, first 2 shown]
/* iter 0 (last unrolled loop) */

/*  grEndMfmaIndex:0, lwStartMfmaIndex:39, lwEndMfmaIndex:39  */
/*  numMfmaForLR:6, barrierMfmaIndex:41, LocalWritePerMfma:0.265 */
/*  mfmaIndex:0  */
s_waitcnt lgkmcnt(0)                               // lgkmcnt=0 vmcnt=-1wait for prior local read local write old=0, new=0 newLW=0 newLR=0
v_mfma_f64_16x16x4f64 v[0+0:7+0], v[vgprValuB_X0_I0+0+0+0:vgprValuB_X0_I0+0+0+0+1], v[vgprValuA_X0_I0+0+0+0:vgprValuA_X0_I0+0+0+0+1], v[0:7]
/*  mfmaIndex:1  */
_ds_load_b64 v[vgprValuA_X1_I0+0:vgprValuA_X1_I0+0+1], v[vgprLocalReadAddrA] offset:4160 // L -> Reg lro=520 swapByteOffset=0 ti=128 vIdx=0 rIdx=0 oIdx=0 buffer=1 iui=0
_ds_load_b64 v[vgprValuB_X1_I0+0:vgprValuB_X1_I0+0+1], v[vgprLocalReadAddrB] offset:3136 // L -> Reg lro=392 swapByteOffset=0 ti=16 vIdx=0 rIdx=0 oIdx=0 buffer=1 iui=0
v_mfma_f64_16x16x4f64 v[8+0:15+0], v[vgprValuB_X0_I0+0+0+0:vgprValuB_X0_I0+0+0+0+1], v[vgprValuA_X0_I0+2+0+0:vgprValuA_X0_I0+2+0+0+1], v[8:15]
/*  mfmaIndex:2  */
_ds_load_b64 v[vgprValuA_X1_I0+2:vgprValuA_X1_I0+2+1], v[vgprLocalReadAddrA] offset:4168 // L -> Reg lro=520 swapByteOffset=0 ti=128 vIdx=0 rIdx=0 oIdx=0 buffer=1 iui=0
_ds_load_b64 v[vgprValuB_X1_I0+2:vgprValuB_X1_I0+2+1], v[vgprLocalReadAddrB] offset:3264 // L -> Reg lro=392 swapByteOffset=0 ti=16 vIdx=1 rIdx=0 oIdx=0 buffer=1 iui=0
v_mfma_f64_16x16x4f64 v[24+0:31+0], v[vgprValuB_X0_I0+2+0+0:vgprValuB_X0_I0+2+0+0+1], v[vgprValuA_X0_I0+2+0+0:vgprValuA_X0_I0+2+0+0+1], v[24:31]
/*  mfmaIndex:3  */
_ds_load_b64 v[vgprValuB_X1_I0+4:vgprValuB_X1_I0+4+1], v[vgprLocalReadAddrB] offset:3392 // L -> Reg lro=392 swapByteOffset=0 ti=16 vIdx=2 rIdx=0 oIdx=0 buffer=1 iui=0
_ds_load_b64 v[vgprValuB_X1_I0+6:vgprValuB_X1_I0+6+1], v[vgprLocalReadAddrB] offset:3520 // L -> Reg lro=392 swapByteOffset=0 ti=16 vIdx=3 rIdx=0 oIdx=0 buffer=1 iui=0
v_mfma_f64_16x16x4f64 v[16+0:23+0], v[vgprValuB_X0_I0+2+0+0:vgprValuB_X0_I0+2+0+0+1], v[vgprValuA_X0_I0+0+0+0:vgprValuA_X0_I0+0+0+0+1], v[16:23]
/*  mfmaIndex:4  */
_ds_load_b64 v[vgprValuB_X1_I0+8:vgprValuB_X1_I0+8+1], v[vgprLocalReadAddrB] offset:3648 // L -> Reg lro=392 swapByteOffset=0 ti=16 vIdx=4 rIdx=0 oIdx=0 buffer=1 iui=0
_ds_load_b64 v[vgprValuB_X1_I0+10:vgprValuB_X1_I0+10+1], v[vgprLocalReadAddrB] offset:3776 // L -> Reg lro=392 swapByteOffset=0 ti=16 vIdx=5 rIdx=0 oIdx=0 buffer=1 iui=0
/* localReadsVacancy: latencyLeft 1 */
v_mfma_f64_16x16x4f64 v[32+0:39+0], v[vgprValuB_X0_I0+4+0+0:vgprValuB_X0_I0+4+0+0+1], v[vgprValuA_X0_I0+0+0+0:vgprValuA_X0_I0+0+0+0+1], v[32:39]
/*  mfmaIndex:5  */
/* localReadsVacancy: latencyLeft 5 */
_ds_load_b64 v[vgprValuA_X2_I0+0:vgprValuA_X2_I0+0+1], v[vgprLocalReadAddrA] offset:8320 // L -> Reg lro=1040 swapByteOffset=0 ti=128 vIdx=0 rIdx=0 oIdx=0 buffer=2 iui=0
_ds_load_b64 v[vgprValuB_X2_I0+0:vgprValuB_X2_I0+0+1], v[vgprLocalReadAddrB] offset:6272 // L -> Reg lro=784 swapByteOffset=0 ti=16 vIdx=0 rIdx=0 oIdx=0 buffer=2 iui=0
v_mfma_f64_16x16x4f64 v[40+0:47+0], v[vgprValuB_X0_I0+4+0+0:vgprValuB_X0_I0+4+0+0+1], v[vgprValuA_X0_I0+2+0+0:vgprValuA_X0_I0+2+0+0+1], v[40:47]
/*  mfmaIndex:6  */
/* localReadsVacancy: latencyLeft 5 */
_ds_load_b64 v[vgprValuA_X2_I0+2:vgprValuA_X2_I0+2+1], v[vgprLocalReadAddrA] offset:8328 // L -> Reg lro=1040 swapByteOffset=0 ti=128 vIdx=0 rIdx=0 oIdx=0 buffer=2 iui=0
_ds_load_b64 v[vgprValuB_X2_I0+2:vgprValuB_X2_I0+2+1], v[vgprLocalReadAddrB] offset:6400 // L -> Reg lro=784 swapByteOffset=0 ti=16 vIdx=1 rIdx=0 oIdx=0 buffer=2 iui=0
v_mfma_f64_16x16x4f64 v[56+0:63+0], v[vgprValuB_X0_I0+6+0+0:vgprValuB_X0_I0+6+0+0+1], v[vgprValuA_X0_I0+2+0+0:vgprValuA_X0_I0+2+0+0+1], v[56:63]
/*  mfmaIndex:7  */
/* localReadsVacancy: latencyLeft 5 */
_ds_load_b64 v[vgprValuB_X2_I0+4:vgprValuB_X2_I0+4+1], v[vgprLocalReadAddrB] offset:6528 // L -> Reg lro=784 swapByteOffset=0 ti=16 vIdx=2 rIdx=0 oIdx=0 buffer=2 iui=0
_ds_load_b64 v[vgprValuB_X2_I0+6:vgprValuB_X2_I0+6+1], v[vgprLocalReadAddrB] offset:6656 // L -> Reg lro=784 swapByteOffset=0 ti=16 vIdx=3 rIdx=0 oIdx=0 buffer=2 iui=0
v_mfma_f64_16x16x4f64 v[48+0:55+0], v[vgprValuB_X0_I0+6+0+0:vgprValuB_X0_I0+6+0+0+1], v[vgprValuA_X0_I0+0+0+0:vgprValuA_X0_I0+0+0+0+1], v[48:55]
/*  mfmaIndex:8  */
/* localReadsVacancy: latencyLeft 5 */
_ds_load_b64 v[vgprValuB_X2_I0+8:vgprValuB_X2_I0+8+1], v[vgprLocalReadAddrB] offset:6784 // L -> Reg lro=784 swapByteOffset=0 ti=16 vIdx=4 rIdx=0 oIdx=0 buffer=2 iui=0
_ds_load_b64 v[vgprValuB_X2_I0+10:vgprValuB_X2_I0+10+1], v[vgprLocalReadAddrB] offset:6912 // L -> Reg lro=784 swapByteOffset=0 ti=16 vIdx=5 rIdx=0 oIdx=0 buffer=2 iui=0
v_mfma_f64_16x16x4f64 v[64+0:71+0], v[vgprValuB_X0_I0+8+0+0:vgprValuB_X0_I0+8+0+0+1], v[vgprValuA_X0_I0+0+0+0:vgprValuA_X0_I0+0+0+0+1], v[64:71]
/*  mfmaIndex:9  */
/* localReadsVacancy: latencyLeft 5 */
_ds_load_b64 v[vgprValuA_X3_I0+0:vgprValuA_X3_I0+0+1], v[vgprLocalReadAddrA] offset:12480 // L -> Reg lro=1560 swapByteOffset=0 ti=128 vIdx=0 rIdx=0 oIdx=0 buffer=3 iui=0
_ds_load_b64 v[vgprValuB_X3_I0+0:vgprValuB_X3_I0+0+1], v[vgprLocalReadAddrB] offset:9408 // L -> Reg lro=1176 swapByteOffset=0 ti=16 vIdx=0 rIdx=0 oIdx=0 buffer=3 iui=0
v_mfma_f64_16x16x4f64 v[72+0:79+0], v[vgprValuB_X0_I0+8+0+0:vgprValuB_X0_I0+8+0+0+1], v[vgprValuA_X0_I0+2+0+0:vgprValuA_X0_I0+2+0+0+1], v[72:79]
/*  mfmaIndex:10  */
/* localReadsVacancy: latencyLeft 5 */
_ds_load_b64 v[vgprValuA_X3_I0+2:vgprValuA_X3_I0+2+1], v[vgprLocalReadAddrA] offset:12488 // L -> Reg lro=1560 swapByteOffset=0 ti=128 vIdx=0 rIdx=0 oIdx=0 buffer=3 iui=0
_ds_load_b64 v[vgprValuB_X3_I0+2:vgprValuB_X3_I0+2+1], v[vgprLocalReadAddrB] offset:9536 // L -> Reg lro=1176 swapByteOffset=0 ti=16 vIdx=1 rIdx=0 oIdx=0 buffer=3 iui=0
v_mfma_f64_16x16x4f64 v[88+0:95+0], v[vgprValuB_X0_I0+10+0+0:vgprValuB_X0_I0+10+0+0+1], v[vgprValuA_X0_I0+2+0+0:vgprValuA_X0_I0+2+0+0+1], v[88:95]
/*  mfmaIndex:11  */
/* localReadsVacancy: latencyLeft 5 */
_ds_load_b64 v[vgprValuB_X3_I0+4:vgprValuB_X3_I0+4+1], v[vgprLocalReadAddrB] offset:9664 // L -> Reg lro=1176 swapByteOffset=0 ti=16 vIdx=2 rIdx=0 oIdx=0 buffer=3 iui=0
_ds_load_b64 v[vgprValuB_X3_I0+6:vgprValuB_X3_I0+6+1], v[vgprLocalReadAddrB] offset:9792 // L -> Reg lro=1176 swapByteOffset=0 ti=16 vIdx=3 rIdx=0 oIdx=0 buffer=3 iui=0
v_mfma_f64_16x16x4f64 v[80+0:87+0], v[vgprValuB_X0_I0+10+0+0:vgprValuB_X0_I0+10+0+0+1], v[vgprValuA_X0_I0+0+0+0:vgprValuA_X0_I0+0+0+0+1], v[80:87]
/* numPrefetchIter=0 */
/* dataAtIterA=-1 numReadsIterA=1 skipReadsIterA=1 readsPerIterA=2 */
/* dataAtIterB=-1 numReadsIterB=1 skipReadsIterB=1 readsPerIterB=6 */


/* iter 1 (last unrolled loop) */

/*  grEndMfmaIndex:0, lwStartMfmaIndex:39, lwEndMfmaIndex:39  */
/*  numMfmaForLR:6, barrierMfmaIndex:41, LocalWritePerMfma:0.265 */
/*  mfmaIndex:12  */
/* localReadsVacancy: latencyLeft 5 */
_ds_load_b64 v[vgprValuB_X3_I0+8:vgprValuB_X3_I0+8+1], v[vgprLocalReadAddrB] offset:9920 // L -> Reg lro=1176 swapByteOffset=0 ti=16 vIdx=4 rIdx=0 oIdx=0 buffer=3 iui=0
_ds_load_b64 v[vgprValuB_X3_I0+10:vgprValuB_X3_I0+10+1], v[vgprLocalReadAddrB] offset:10048 // L -> Reg lro=1176 swapByteOffset=0 ti=16 vIdx=5 rIdx=0 oIdx=0 buffer=3 iui=0
s_waitcnt lgkmcnt(15)                              // lgkmcnt=0 vmcnt=-1wait for prior local read local write old=8, new=8 newLW=0 newLR=0
v_mfma_f64_16x16x4f64 v[0+0:7+0], v[vgprValuB_X1_I0+0+0+0:vgprValuB_X1_I0+0+0+0+1], v[vgprValuA_X1_I0+0+0+0:vgprValuA_X1_I0+0+0+0+1], v[0:7]
/*  mfmaIndex:13  */
/* localReadsVacancy: latencyLeft 5 */
v_mfma_f64_16x16x4f64 v[8+0:15+0], v[vgprValuB_X1_I0+0+0+0:vgprValuB_X1_I0+0+0+0+1], v[vgprValuA_X1_I0+2+0+0:vgprValuA_X1_I0+2+0+0+1], v[8:15]
/*  mfmaIndex:14  */
/* localReadsVacancy: latencyLeft 5 */
	;; [unrolled: 3-line block ×11, first 2 shown]
v_mfma_f64_16x16x4f64 v[80+0:87+0], v[vgprValuB_X1_I0+10+0+0:vgprValuB_X1_I0+10+0+0+1], v[vgprValuA_X1_I0+0+0+0:vgprValuA_X1_I0+0+0+0+1], v[80:87]
/* numPrefetchIter=0 */
/* dataAtIterA=0 numReadsIterA=2 skipReadsIterA=1 readsPerIterA=2 */
/* dataAtIterB=0 numReadsIterB=2 skipReadsIterB=1 readsPerIterB=6 */


/* iter 2 (last unrolled loop) */

/*  grEndMfmaIndex:0, lwStartMfmaIndex:39, lwEndMfmaIndex:39  */
/*  numMfmaForLR:6, barrierMfmaIndex:41, LocalWritePerMfma:0.265 */
/*  mfmaIndex:24  */
/* localReadsVacancy: latencyLeft 5 */
s_waitcnt lgkmcnt(2)                               // lgkmcnt=0 vmcnt=-1wait for prior local read local write old=2, new=2 newLW=0 newLR=0
v_mfma_f64_16x16x4f64 v[0+0:7+0], v[vgprValuB_X2_I0+0+0+0:vgprValuB_X2_I0+0+0+0+1], v[vgprValuA_X2_I0+0+0+0:vgprValuA_X2_I0+0+0+0+1], v[0:7]
/*  mfmaIndex:25  */
/* localReadsVacancy: latencyLeft 5 */
v_mfma_f64_16x16x4f64 v[8+0:15+0], v[vgprValuB_X2_I0+0+0+0:vgprValuB_X2_I0+0+0+0+1], v[vgprValuA_X2_I0+2+0+0:vgprValuA_X2_I0+2+0+0+1], v[8:15]
/*  mfmaIndex:26  */
/* localReadsVacancy: latencyLeft 5 */
	;; [unrolled: 3-line block ×11, first 2 shown]
v_mfma_f64_16x16x4f64 v[80+0:87+0], v[vgprValuB_X2_I0+10+0+0:vgprValuB_X2_I0+10+0+0+1], v[vgprValuA_X2_I0+0+0+0:vgprValuA_X2_I0+0+0+0+1], v[80:87]
/* numPrefetchIter=0 */
/* dataAtIterA=1 numReadsIterA=3 skipReadsIterA=1 readsPerIterA=2 */
/* dataAtIterB=1 numReadsIterB=3 skipReadsIterB=1 readsPerIterB=6 */


/* iter 3 (last unrolled loop) */

/*  grEndMfmaIndex:0, lwStartMfmaIndex:39, lwEndMfmaIndex:39  */
/*  numMfmaForLR:6, barrierMfmaIndex:41, LocalWritePerMfma:0.265 */
/*  mfmaIndex:36  */
s_waitcnt lgkmcnt(0)                               // lgkmcnt=0 vmcnt=-1wait for prior local read local write old=0, new=0 newLW=0 newLR=0
v_mfma_f64_16x16x4f64 v[0+0:7+0], v[vgprValuB_X3_I0+0+0+0:vgprValuB_X3_I0+0+0+0+1], v[vgprValuA_X3_I0+0+0+0:vgprValuA_X3_I0+0+0+0+1], v[0:7]
/*  mfmaIndex:37  */
v_mfma_f64_16x16x4f64 v[8+0:15+0], v[vgprValuB_X3_I0+0+0+0:vgprValuB_X3_I0+0+0+0+1], v[vgprValuA_X3_I0+2+0+0:vgprValuA_X3_I0+2+0+0+1], v[8:15]
/*  mfmaIndex:38  */
/* 1 LDS buffer: read-sync-write */
s_waitcnt lgkmcnt(0)                               // 
s_barrier                                          // 
v_mfma_f64_16x16x4f64 v[24+0:31+0], v[vgprValuB_X3_I0+2+0+0:vgprValuB_X3_I0+2+0+0+1], v[vgprValuA_X3_I0+2+0+0:vgprValuA_X3_I0+2+0+0+1], v[24:31]
/*  mfmaIndex:39  */
s_setprio 3                                        // store optimization
v_mfma_f64_16x16x4f64 v[16+0:23+0], v[vgprValuB_X3_I0+2+0+0:vgprValuB_X3_I0+2+0+0+1], v[vgprValuA_X3_I0+0+0+0:vgprValuA_X3_I0+0+0+0+1], v[16:23]
/*  mfmaIndex:40  */
v_mfma_f64_16x16x4f64 v[32+0:39+0], v[vgprValuB_X3_I0+4+0+0:vgprValuB_X3_I0+4+0+0+1], v[vgprValuA_X3_I0+0+0+0:vgprValuA_X3_I0+0+0+0+1], v[32:39]
s_setprio 0                                        // store optimization
/*  mfmaIndex:41  */
v_mfma_f64_16x16x4f64 v[40+0:47+0], v[vgprValuB_X3_I0+4+0+0:vgprValuB_X3_I0+4+0+0+1], v[vgprValuA_X3_I0+2+0+0:vgprValuA_X3_I0+2+0+0+1], v[40:47]
/*  mfmaIndex:42  */
s_setprio 3                                        // store optimization
v_mfma_f64_16x16x4f64 v[56+0:63+0], v[vgprValuB_X3_I0+6+0+0:vgprValuB_X3_I0+6+0+0+1], v[vgprValuA_X3_I0+2+0+0:vgprValuA_X3_I0+2+0+0+1], v[56:63]
/*  mfmaIndex:43  */
v_mfma_f64_16x16x4f64 v[48+0:55+0], v[vgprValuB_X3_I0+6+0+0:vgprValuB_X3_I0+6+0+0+1], v[vgprValuA_X3_I0+0+0+0:vgprValuA_X3_I0+0+0+0+1], v[48:55]
/*  mfmaIndex:44  */
	;; [unrolled: 2-line block ×5, first 2 shown]
v_mfma_f64_16x16x4f64 v[80+0:87+0], v[vgprValuB_X3_I0+10+0+0:vgprValuB_X3_I0+10+0+0+1], v[vgprValuA_X3_I0+0+0+0:vgprValuA_X3_I0+0+0+0+1], v[80:87]
/* numPrefetchIter=0 */
/* dataAtIterA=2 numReadsIterA=3 skipReadsIterA=0 readsPerIterA=2 */
/* dataAtIterB=2 numReadsIterB=3 skipReadsIterB=0 readsPerIterB=6 */

PrefetchGlobalLastIterEnd_5:


/******************************************/
/* Tail Loop                              */
/******************************************/


/* local write reset offsets a */


	;; [unrolled: 1-line block ×3, first 2 shown]
/* local write reset offsets b */


	;; [unrolled: 1-line block ×3, first 2 shown]
//numIterL = (((sizeL % LOCAL_DEPTHU) + LOCAL_SPLITU - 1) / LOCAL_SPLITU)
s_and_b32 s[sgprLoopCounterL], 15, s[sgprSizesSum+0] // s[sgprLoopCounterL] = s[sgprSizesSum+0] % 16
s_cmp_eq_u32 s[sgprLoopCounterL], 0x0              // numIterL == 0
s_cbranch_scc1 SkipTailLoopL_8                     // skip to end of tail loop b/c numIter==0
s_mov_b32 s[sgprOrigLoopCounter], 0                // repurpose to count each localRead increment


/* Update M0 for DTLDS */


	;; [unrolled: 1-line block ×3, first 2 shown]
/* global read a */

/* global addressing - max read address = Tensor2dSizeA */
s_mul_hi_u32 s21, s[sgprWorkGroup2], s[sgprStrideAK] // 64b tensorA size in elements
s_mul_i32 s20, s[sgprWorkGroup2], s[sgprStrideAK]  // 64b tensorA size in elements
s_add_u32 s20, s[sgprTensor2dSizeA], s20           // add Tensor2dSizeA
s_addc_u32 s21, s[sgprTensor2dSizeA+1], s21        // add Tensor2dSizeA
s_lshl_b64 s[20:21], s[20:21], 0x3                 // <- tensorA size in bytes
s_add_u32 s20, s16, s20                            // prepend address lower
s_addc_u32 s21, s17, s21                           // prepend address upper
v_mov_b32 v212, s20                                // sgpr->vgpr
v_mov_b32 v213, s21                                // sgpr->vgpr
s_mov_b64 s[20:21], 0xFFFFFFFFFFFFFFFF             // to restore all threads active
v_mov_b32 v211, 0x8                                // bpe*numElementsPerLoad
v_mov_b32 v214, 0x0                                // zero
/* g2l=0, load component 0 */
_v_cmpx_lt_u64 vcc, v[vgprGlobalReadAddrA+0:vgprGlobalReadAddrA+0+1], v[212:213] // addr < maxAddr
_global_load_b64 v[vgprG2LA+0+0:vgprG2LA+0+0+1], v[vgprGlobalReadAddrA+0:vgprGlobalReadAddrA+0+1], off, offset:0 // load one global value
s_or_saveexec_b64 vcc, s[20:21]                    // all threads active
_v_add_co_u32 v[vgprGlobalReadAddrA+0+0], vcc, v[vgprGlobalReadAddrA+0+0], v211 // gra += 1 (lower)
_v_addc_co_u32 v[vgprGlobalReadAddrA+0+1], vcc, v[vgprGlobalReadAddrA+0+1], v214, vcc // gra += 1 (upper)
/* g2l=0, load component 1 */
_v_cmpx_lt_u64 vcc, v[vgprGlobalReadAddrA+0:vgprGlobalReadAddrA+0+1], v[212:213] // addr < maxAddr
_global_load_b64 v[vgprG2LA+0+2:vgprG2LA+0+2+1], v[vgprGlobalReadAddrA+0:vgprGlobalReadAddrA+0+1], off, offset:0 // load one global value
s_or_saveexec_b64 vcc, s[20:21]                    // all threads active
_v_add_co_u32 v[vgprGlobalReadAddrA+0+0], vcc, v[vgprGlobalReadAddrA+0+0], v211 // gra += 1 (lower)
_v_addc_co_u32 v[vgprGlobalReadAddrA+0+1], vcc, v[vgprGlobalReadAddrA+0+1], v214, vcc // gra += 1 (upper)
	;; [unrolled: 6-line block ×8, first 2 shown]


/* Update M0 for DTLDS */


	;; [unrolled: 1-line block ×3, first 2 shown]
/* global read b */

/* global addressing - max read address = Tensor2dSizeB */
s_mul_hi_u32 s21, s[sgprWorkGroup2], s[sgprStrideBK] // 64b tensorB size in elements
s_mul_i32 s20, s[sgprWorkGroup2], s[sgprStrideBK]  // 64b tensorB size in elements
s_add_u32 s20, s[sgprTensor2dSizeB], s20           // add Tensor2dSizeB
s_addc_u32 s21, s[sgprTensor2dSizeB+1], s21        // add Tensor2dSizeB
s_lshl_b64 s[20:21], s[20:21], 0x3                 // <- tensorB size in bytes
s_add_u32 s20, s18, s20                            // prepend address lower
s_addc_u32 s21, s19, s21                           // prepend address upper
v_mov_b32 v212, s20                                // sgpr->vgpr
v_mov_b32 v213, s21                                // sgpr->vgpr
s_mov_b64 s[20:21], 0xFFFFFFFFFFFFFFFF             // to restore all threads active
v_mov_b32 v211, 0x8                                // bpe*numElementsPerLoad
v_mov_b32 v214, 0x0                                // zero
/* g2l=0, load component 0 */
_v_cmpx_lt_u64 vcc, v[vgprGlobalReadAddrB+0:vgprGlobalReadAddrB+0+1], v[212:213] // addr < maxAddr
_global_load_b64 v[vgprG2LB+0+0:vgprG2LB+0+0+1], v[vgprGlobalReadAddrB+0:vgprGlobalReadAddrB+0+1], off, offset:0 // load one global value
s_or_saveexec_b64 vcc, s[20:21]                    // all threads active
_v_add_co_u32 v[vgprGlobalReadAddrB+0+0], vcc, v[vgprGlobalReadAddrB+0+0], v211 // gra += 1 (lower)
_v_addc_co_u32 v[vgprGlobalReadAddrB+0+1], vcc, v[vgprGlobalReadAddrB+0+1], v214, vcc // gra += 1 (upper)
/* g2l=0, load component 1 */
_v_cmpx_lt_u64 vcc, v[vgprGlobalReadAddrB+0:vgprGlobalReadAddrB+0+1], v[212:213] // addr < maxAddr
_global_load_b64 v[vgprG2LB+0+2:vgprG2LB+0+2+1], v[vgprGlobalReadAddrB+0:vgprGlobalReadAddrB+0+1], off, offset:0 // load one global value
s_or_saveexec_b64 vcc, s[20:21]                    // all threads active
_v_add_co_u32 v[vgprGlobalReadAddrB+0+0], vcc, v[vgprGlobalReadAddrB+0+0], v211 // gra += 1 (lower)
_v_addc_co_u32 v[vgprGlobalReadAddrB+0+1], vcc, v[vgprGlobalReadAddrB+0+1], v214, vcc // gra += 1 (upper)
/* g2l=4, load component 0 */
_v_cmpx_lt_u64 vcc, v[vgprGlobalReadAddrB+2:vgprGlobalReadAddrB+2+1], v[212:213] // addr < maxAddr
_global_load_b64 v[vgprG2LB+4+0:vgprG2LB+4+0+1], v[vgprGlobalReadAddrB+2:vgprGlobalReadAddrB+2+1], off, offset:0 // load one global value
s_or_saveexec_b64 vcc, s[20:21]                    // all threads active
_v_add_co_u32 v[vgprGlobalReadAddrB+2+0], vcc, v[vgprGlobalReadAddrB+2+0], v211 // gra += 1 (lower)
_v_addc_co_u32 v[vgprGlobalReadAddrB+2+1], vcc, v[vgprGlobalReadAddrB+2+1], v214, vcc // gra += 1 (upper)
/* g2l=4, load component 1 */
_v_cmpx_lt_u64 vcc, v[vgprGlobalReadAddrB+2:vgprGlobalReadAddrB+2+1], v[212:213] // addr < maxAddr
_global_load_b64 v[vgprG2LB+4+2:vgprG2LB+4+2+1], v[vgprGlobalReadAddrB+2:vgprGlobalReadAddrB+2+1], off, offset:0 // load one global value
s_or_saveexec_b64 vcc, s[20:21]                    // all threads active
_v_add_co_u32 v[vgprGlobalReadAddrB+2+0], vcc, v[vgprGlobalReadAddrB+2+0], v211 // gra += 1 (lower)
_v_addc_co_u32 v[vgprGlobalReadAddrB+2+1], vcc, v[vgprGlobalReadAddrB+2+1], v214, vcc // gra += 1 (upper)
/* g2l=8, load component 0 */
_v_cmpx_lt_u64 vcc, v[vgprGlobalReadAddrB+4:vgprGlobalReadAddrB+4+1], v[212:213] // addr < maxAddr
_global_load_b64 v[vgprG2LB+8+0:vgprG2LB+8+0+1], v[vgprGlobalReadAddrB+4:vgprGlobalReadAddrB+4+1], off, offset:0 // load one global value
s_or_saveexec_b64 vcc, s[20:21]                    // all threads active
_v_add_co_u32 v[vgprGlobalReadAddrB+4+0], vcc, v[vgprGlobalReadAddrB+4+0], v211 // gra += 1 (lower)
_v_addc_co_u32 v[vgprGlobalReadAddrB+4+1], vcc, v[vgprGlobalReadAddrB+4+1], v214, vcc // gra += 1 (upper)
/* g2l=8, load component 1 */
_v_cmpx_lt_u64 vcc, v[vgprGlobalReadAddrB+4:vgprGlobalReadAddrB+4+1], v[212:213] // addr < maxAddr
_global_load_b64 v[vgprG2LB+8+2:vgprG2LB+8+2+1], v[vgprGlobalReadAddrB+4:vgprGlobalReadAddrB+4+1], off, offset:0 // load one global value
s_or_saveexec_b64 vcc, s[20:21]                    // all threads active
_v_add_co_u32 v[vgprGlobalReadAddrB+4+0], vcc, v[vgprGlobalReadAddrB+4+0], v211 // gra += 1 (lower)
_v_addc_co_u32 v[vgprGlobalReadAddrB+4+1], vcc, v[vgprGlobalReadAddrB+4+1], v214, vcc // gra += 1 (upper)

s_waitcnt vmcnt(0)                                 // lgkmcnt=-1 vmcnt=02wait for global read

// Skip force waitcnt0
s_barrier //


/* Done global A/B reads */


	;; [unrolled: 1-line block ×4, first 2 shown]
/* local write a */

_ds_store_b64 v[vgprLocalWriteAddrA], v[vgprG2LA+0:vgprG2LA+0+1] offset:0 // lwoA_0_0_0_0 = (0 + 0*LSCA)*(MT0I+PAD) + (0*LSPA) = 0
_ds_store_b64 v[vgprLocalWriteAddrA], v[vgprG2LA+2:vgprG2LA+2+1] offset:1040 // lwoA_0_1_0_0 = (1 + 0*LSCA)*(MT0I+PAD) + (0*LSPA) = 1040
_ds_store_b64 v[vgprLocalWriteAddrA], v[vgprG2LA+4:vgprG2LA+4+1] offset:256 // lwoA_0_0_1_0 = (0 + 0*LSCA)*(MT0I+PAD) + (1*LSPA) = 256
_ds_store_b64 v[vgprLocalWriteAddrA], v[vgprG2LA+6:vgprG2LA+6+1] offset:1296 // lwoA_0_1_1_0 = (1 + 0*LSCA)*(MT0I+PAD) + (1*LSPA) = 1296
_ds_store_b64 v[vgprLocalWriteAddrA], v[vgprG2LA+8:vgprG2LA+8+1] offset:512 // lwoA_0_0_2_0 = (0 + 0*LSCA)*(MT0I+PAD) + (2*LSPA) = 512
_ds_store_b64 v[vgprLocalWriteAddrA], v[vgprG2LA+10:vgprG2LA+10+1] offset:1552 // lwoA_0_1_2_0 = (1 + 0*LSCA)*(MT0I+PAD) + (2*LSPA) = 1552
_ds_store_b64 v[vgprLocalWriteAddrA], v[vgprG2LA+12:vgprG2LA+12+1] offset:768 // lwoA_0_0_3_0 = (0 + 0*LSCA)*(MT0I+PAD) + (3*LSPA) = 768
_ds_store_b64 v[vgprLocalWriteAddrA], v[vgprG2LA+14:vgprG2LA+14+1] offset:1808 // lwoA_0_1_3_0 = (1 + 0*LSCA)*(MT0I+PAD) + (3*LSPA) = 1808


/* local write b */

_ds_store_b64 v[vgprLocalWriteAddrB], v[vgprG2LB+0:vgprG2LB+0+1] offset:0 // lwoB_0_0_0_0 = (0 + 0*LSCB)*(MT1J+PAD) + (0*LSPB) = 0
_ds_store_b64 v[vgprLocalWriteAddrB], v[vgprG2LB+2:vgprG2LB+2+1] offset:784 // lwoB_0_1_0_0 = (1 + 0*LSCB)*(MT1J+PAD) + (0*LSPB) = 784
_ds_store_b64 v[vgprLocalWriteAddrB], v[vgprG2LB+4:vgprG2LB+4+1] offset:256 // lwoB_0_0_1_0 = (0 + 0*LSCB)*(MT1J+PAD) + (1*LSPB) = 256
_ds_store_b64 v[vgprLocalWriteAddrB], v[vgprG2LB+6:vgprG2LB+6+1] offset:1040 // lwoB_0_1_1_0 = (1 + 0*LSCB)*(MT1J+PAD) + (1*LSPB) = 1040
_ds_store_b64 v[vgprLocalWriteAddrB], v[vgprG2LB+8:vgprG2LB+8+1] offset:512 // lwoB_0_0_2_0 = (0 + 0*LSCB)*(MT1J+PAD) + (2*LSPB) = 512
_ds_store_b64 v[vgprLocalWriteAddrB], v[vgprG2LB+10:vgprG2LB+10+1] offset:1296 // lwoB_0_1_2_0 = (1 + 0*LSCB)*(MT1J+PAD) + (2*LSPB) = 1296


/* Recalc local read offsets */


s_waitcnt lgkmcnt(0)                               // lgkmcnt=0 vmcnt=-15wait for local write

// Skip force waitcnt0
s_barrier //


/* local read reset offsets a */


	;; [unrolled: 1-line block ×3, first 2 shown]
/* local read reset offsets b */


	;; [unrolled: 1-line block ×3, first 2 shown]
/* local read init pointers a */


/* localReadInitPointers */


/* local read init pointers b */


/* localReadInitPointers */


/* tail loop: macs */

TailLoopBeginL_6:


/* local read a */

_ds_load_b64 v[vgprValuA_X0_I0+0:vgprValuA_X0_I0+0+1], v[vgprLocalReadAddrA] offset:0 // L -> Reg lro=0 swapByteOffset=0 ti=128 vIdx=0 rIdx=0 oIdx=0 buffer=0 iui=0
_ds_load_b64 v[vgprValuA_X0_I0+2:vgprValuA_X0_I0+2+1], v[vgprLocalReadAddrA] offset:8 // L -> Reg lro=0 swapByteOffset=0 ti=128 vIdx=0 rIdx=0 oIdx=0 buffer=0 iui=0


/* local read b */

_ds_load_b64 v[vgprValuB_X0_I0+0:vgprValuB_X0_I0+0+1], v[vgprLocalReadAddrB] offset:0 // L -> Reg lro=0 swapByteOffset=0 ti=16 vIdx=0 rIdx=0 oIdx=0 buffer=0 iui=0
_ds_load_b64 v[vgprValuB_X0_I0+2:vgprValuB_X0_I0+2+1], v[vgprLocalReadAddrB] offset:128 // L -> Reg lro=0 swapByteOffset=0 ti=16 vIdx=1 rIdx=0 oIdx=0 buffer=0 iui=0
	;; [unrolled: 1-line block ×6, first 2 shown]


/* local read inc a */

s_mov_b32 s7, 0x1040                               // inc
_v_add_co_u32 v[vgprLocalReadAddrA], vcc, s7, v[vgprLocalReadAddrA] // lrA += 4160 (LSU*(MT+PAD)*bpe)


/* local read inc b */

s_mov_b32 s7, 0xc40                                // inc
_v_add_co_u32 v[vgprLocalReadAddrB], vcc, s7, v[vgprLocalReadAddrB] // lrB += 3136 (LSU*(MT+PAD)*bpe)

s_waitcnt lgkmcnt(0)                               // lgkmcnt=0 vmcnt=-14wait for local read


	;; [unrolled: 1-line block ×3, first 2 shown]
/* tail loop mfma iter 0: numReadsIterCoalescedA=1, numReadsIterCoalescedB=1 */
v_and_b32 v211, 63, v[vgprSerial]                  // v211 = v[vgprSerial] % 64
v_lshrrev_b32 v211, 4, v211                        // v211 = v211 / 16
                                                   // v211 = v211 * 1 (multiplier is 1, do nothing)
v_cmp_ge_i32 s[20:21], v211, s[sgprLoopCounterL]   // check K index >= Size L
v_cndmask_b32 v[vgprValuA_X0_I0+0+0+0+0], v[vgprValuA_X0_I0+0+0+0+0], 0x0, s[20:21] // set 0 if K_idx >= sizeL
v_cndmask_b32 v[vgprValuA_X0_I0+2+0+0+0], v[vgprValuA_X0_I0+2+0+0+0], 0x0, s[20:21] // set 0 if K_idx >= sizeL
v_cndmask_b32 v[vgprValuB_X0_I0+0+0+0+0], v[vgprValuB_X0_I0+0+0+0+0], 0x0, s[20:21] // set 0 if K_idx >= sizeL
v_cndmask_b32 v[vgprValuB_X0_I0+2+0+0+0], v[vgprValuB_X0_I0+2+0+0+0], 0x0, s[20:21] // set 0 if K_idx >= sizeL
	;; [unrolled: 1-line block ×6, first 2 shown]
v_cndmask_b32 v[vgprValuA_X0_I0+0+0+0+1], v[vgprValuA_X0_I0+0+0+0+1], 0x0, s[20:21] // set 0 if K_idx >= sizeL
v_cndmask_b32 v[vgprValuA_X0_I0+2+0+0+1], v[vgprValuA_X0_I0+2+0+0+1], 0x0, s[20:21] // set 0 if K_idx >= sizeL
v_cndmask_b32 v[vgprValuB_X0_I0+0+0+0+1], v[vgprValuB_X0_I0+0+0+0+1], 0x0, s[20:21] // set 0 if K_idx >= sizeL
v_cndmask_b32 v[vgprValuB_X0_I0+2+0+0+1], v[vgprValuB_X0_I0+2+0+0+1], 0x0, s[20:21] // set 0 if K_idx >= sizeL
	;; [unrolled: 1-line block ×6, first 2 shown]
s_nop 1
v_mfma_f64_16x16x4f64 v[0+0:7+0], v[vgprValuB_X0_I0+0+0+0:vgprValuB_X0_I0+0+0+0+1], v[vgprValuA_X0_I0+0+0+0:vgprValuA_X0_I0+0+0+0+1], v[0:7]
v_mfma_f64_16x16x4f64 v[8+0:15+0], v[vgprValuB_X0_I0+0+0+0:vgprValuB_X0_I0+0+0+0+1], v[vgprValuA_X0_I0+2+0+0:vgprValuA_X0_I0+2+0+0+1], v[8:15]
v_mfma_f64_16x16x4f64 v[24+0:31+0], v[vgprValuB_X0_I0+2+0+0:vgprValuB_X0_I0+2+0+0+1], v[vgprValuA_X0_I0+2+0+0:vgprValuA_X0_I0+2+0+0+1], v[24:31]
v_mfma_f64_16x16x4f64 v[16+0:23+0], v[vgprValuB_X0_I0+2+0+0:vgprValuB_X0_I0+2+0+0+1], v[vgprValuA_X0_I0+0+0+0:vgprValuA_X0_I0+0+0+0+1], v[16:23]
v_mfma_f64_16x16x4f64 v[32+0:39+0], v[vgprValuB_X0_I0+4+0+0:vgprValuB_X0_I0+4+0+0+1], v[vgprValuA_X0_I0+0+0+0:vgprValuA_X0_I0+0+0+0+1], v[32:39]
v_mfma_f64_16x16x4f64 v[40+0:47+0], v[vgprValuB_X0_I0+4+0+0:vgprValuB_X0_I0+4+0+0+1], v[vgprValuA_X0_I0+2+0+0:vgprValuA_X0_I0+2+0+0+1], v[40:47]
v_mfma_f64_16x16x4f64 v[56+0:63+0], v[vgprValuB_X0_I0+6+0+0:vgprValuB_X0_I0+6+0+0+1], v[vgprValuA_X0_I0+2+0+0:vgprValuA_X0_I0+2+0+0+1], v[56:63]
v_mfma_f64_16x16x4f64 v[48+0:55+0], v[vgprValuB_X0_I0+6+0+0:vgprValuB_X0_I0+6+0+0+1], v[vgprValuA_X0_I0+0+0+0:vgprValuA_X0_I0+0+0+0+1], v[48:55]
v_mfma_f64_16x16x4f64 v[64+0:71+0], v[vgprValuB_X0_I0+8+0+0:vgprValuB_X0_I0+8+0+0+1], v[vgprValuA_X0_I0+0+0+0:vgprValuA_X0_I0+0+0+0+1], v[64:71]
v_mfma_f64_16x16x4f64 v[72+0:79+0], v[vgprValuB_X0_I0+8+0+0:vgprValuB_X0_I0+8+0+0+1], v[vgprValuA_X0_I0+2+0+0:vgprValuA_X0_I0+2+0+0+1], v[72:79]
v_mfma_f64_16x16x4f64 v[88+0:95+0], v[vgprValuB_X0_I0+10+0+0:vgprValuB_X0_I0+10+0+0+1], v[vgprValuA_X0_I0+2+0+0:vgprValuA_X0_I0+2+0+0+1], v[88:95]
v_mfma_f64_16x16x4f64 v[80+0:87+0], v[vgprValuB_X0_I0+10+0+0:vgprValuB_X0_I0+10+0+0+1], v[vgprValuA_X0_I0+0+0+0:vgprValuA_X0_I0+0+0+0+1], v[80:87]


/* closeLoop loopL finalLoop=1 tailLoop=1 */
s_sub_i32 s[sgprLoopCounterL], s[sgprLoopCounterL], 0x4 // dec counterL (tailLoop)
s_add_u32 s[sgprOrigLoopCounter], s[sgprOrigLoopCounter], 0x4 // inc counterL
s_cmp_le_i32 s[sgprLoopCounterL], 0x0              // counterL<=0
s_cbranch_scc0 TailLoopBeginL_6                    // restart LoopL
TailLoopEndL_7:

SkipTailLoopL_8:

Summation_End_20:
s_setprio 0                                        // optimization store
/* endSummation: add vgpr [96...208) to pool */
.set NumFullBlocks, UNDEF
.set WgmRemainder1, UNDEF
.set MagicNumberWgmRemainder1, UNDEF

/* Mapping of Acc register -> C Vgpr register */

/* Multiply MI out register with Alpha -> C Vgpr register */


	;; [unrolled: 1-line block ×3, first 2 shown]
/* not-LocalSplitU: global write indices */

/* computeStoreVgprs */
v_lshrrev_b32 v98, 6, v[vgprSerial]                // v98 = v[vgprSerial] / 64
v_and_b32 v97, 63, v[vgprSerial]                   // v97 = v[vgprSerial] % 64
v_lshrrev_b32 v97, 4, v97                          // v97 = v97 / 16
                                                   // thread0 * continuous_output (multiplier is 1, do nothing)
v_lshrrev_b32 v99, 2, v98                          // v99 = v98 / 4
v_mul_lo_u32 v99, 0x10, v99                        // wave coordination offset 1
_v_add_lshl_u32 v97, v99, v97, 0                   // coordination 1 = vwb *(wave_id1 + tid1)
v_and_b32 v99, 3, v98                              // v99 = v98 % 4
v_mul_lo_u32 v99, 0x10, v99                        // wave coordination offset 0
v_and_b32 v96, 15, v[vgprSerial]                   // v96 = v[vgprSerial] % 16
_v_add_lshl_u32 v96, v99, v96, 1                   // coordination 0 = vwa *(wave_id0 + tid0)
s_mul_i32 s7, 128, s[sgprWorkGroup0]               // wgp0 * MT0
_v_add_u32 v96, s7, v96                            // coord 0 = (tid0/MI_m)*4 + waveG0*MIB_m + MT0*SG0
s_mul_i32 s7, 96, s[sgprWorkGroup1]                // wgp1 * MT1
_v_add_u32 v97, s7, v97                            // coord 1 = (tid0%MI_m) + waveG1*MIB_n + MT1*SG1
v_mov_b32 v98, s[sgprAddressD+0]                   // sgpr -> vgpr
v_mov_b32 v99, s[sgprAddressD+1]                   // sgpr -> vgpr
v_mov_b32 v100, s[sgprAddressC+0]                  // sgpr -> vgpr
v_mov_b32 v101, s[sgprAddressC+1]                  // sgpr -> vgpr


/* not-LocalSplitU: global write */

s_mov_b32 s7, s[sgprBeta+0]                        // tmp = Beta[0]
s_or_b32 s7, s[sgprBeta+1], s7                     // tmp |= Beta[1] 
s_cmpk_eq_u32 s7, 0x0                              // Beta == 0
s_cbranch_scc0 GW_Beta_35                          // Branch if Beta is not zero

s_and_b32 s20, 127, s[sgprSizeI]                   // s20 = s[sgprSizeI] % 128
s_add_u32 s21, -0x1, s[sgprNumWorkGroups0]         // 
s_cmp_ge_u32 s[sgprWorkGroup0], s21                // wg0 >= nwg0-1 ?
s_cselect_b32 s20, s20, 0                          // set rMT0
s_cmpk_gt_u32 s20, 0x0                             // rMT0 > 0
s_cbranch_scc1 GW_B0_E1_26                         // jump if edges required
s_mov_b32 s23, 0x0                                 // STATIC_DIV: divisior=96
s_mul_i32 s22, 0x555, s[sgprSizeJ]                 // tmp1 = dividend * magic hi
s_lshl_b64 s[22:23], s[22:23], 0x10                // left shift 16 bits
s_mul_i32 s21, s[sgprSizeJ], 0x5556                // tmp0 = dividend * magic lo
s_add_u32 s22, s21, s22                            // add lo
s_addc_u32 s23, s23, 0x0                           // add hi
s_lshr_b64 s[22:23], s[22:23], 0x21                // tmp1 = (dividend * magic) << shift
s_mov_b32 s21, s22                                 // quotient
s_mul_i32 s22, s21, 0x60                           // quotient*divisor
s_sub_u32 s20, s[sgprSizeJ], s22                   // rReg = dividend - quotient*divisor
s_add_u32 s21, -0x1, s[sgprNumWorkGroups1]         // 
s_cmp_ge_u32 s[sgprWorkGroup1], s21                // wg1 >= nwg1-1
s_cselect_b32 s20, s20, 0                          // set rMT1
s_cmpk_gt_u32 s20, 0x0                             // rMT1 > 0
s_cbranch_scc1 GW_B0_E1_26                         // jump if edges required
GW_B0_E0_23:

/* edge=0, allocate 50 sgpr. perBatchTmpS=4 perBatchMaskS=0 perElementMaskS=2 elementsPerBatch=23 */
/* optSingleColVgpr=0 optSharedColVgpr=0 optSGPRUsage=None optSrdIncForRow=0 */
s_sleep 7 // optimization: sync and wait
s_barrier

/******************************************/
/* Global Write Alpha Batch #0 (d1,d0,vc1,vc0) = */
/*    (0,0,0,0:vw2); (1,0,0,0:vw2); (2,0,0,0:vw2); (3,0,0,0:vw2); (4,0,0,0:vw2); (5,0,0,0:vw2); (6,0,0,0:vw2); (7,0,0,0:vw2); (8,0,0,0:vw2); (9,0,0,0:vw2); (10,0,0,0:vw2); (11,0,0,0:vw2); (12,0,0,0:vw2); (13,0,0,0:vw2); (14,0,0,0:vw2); (15,0,0,0:vw2); (16,0,0,0:vw2); (17,0,0,0:vw2); (18,0,0,0:vw2); (19,0,0,0:vw2); (20,0,0,0:vw2); (21,0,0,0:vw2); (22,0,0,0:vw2) */
/******************************************/

/* calc coords, apply mask, and issue loads (if necessary) */
/* (d1,vc1,d0,vc0)=(0,0,0,0) */
GLOBAL_OFFSET_D 108, 96, 97, 104
v_mov_b32 v104, v108                               // temp store offset 0
v_mov_b32 v105, v109                               // temp store offset 1
_v_add_co_u32 v108, vcc, v98, v104                 // addrVgpr = D + index*bytes (lo)
_v_addc_co_u32 v109, vcc, v99, v105, vcc           // addrVgpr = D + index*bytes (hi)
/* (d1,vc1,d0,vc0)=(1,0,0,0) */
_v_add_co_u32 v97, vcc, v97, 4                     // coord1.1: coord1Vgpr += d1*sg1*VW + vc1
GLOBAL_OFFSET_D 110, 96, 97, 104
v_mov_b32 v104, v110                               // temp store offset 0
v_mov_b32 v105, v111                               // temp store offset 1
_v_add_co_u32 v110, vcc, v98, v104                 // addrVgpr = D + index*bytes (lo)
_v_addc_co_u32 v111, vcc, v99, v105, vcc           // addrVgpr = D + index*bytes (hi)
/* (d1,vc1,d0,vc0)=(2,0,0,0) */
_v_add_co_u32 v97, vcc, v97, 4                     // coord1.1: coord1Vgpr += d1*sg1*VW + vc1
	;; [unrolled: 7-line block ×22, first 2 shown]
GLOBAL_OFFSET_D 244, 96, 97, 104
v_mov_b32 v104, v244                               // temp store offset 0
v_mov_b32 v105, v245                               // temp store offset 1
_v_add_co_u32 v244, vcc, v98, v104                 // addrVgpr = D + index*bytes (lo)
_v_addc_co_u32 v245, vcc, v99, v105, vcc           // addrVgpr = D + index*bytes (hi)

/* rC *= alpha batchElements=[(0, 0, 0, 0), (1, 0, 0, 0), (2, 0, 0, 0), (3, 0, 0, 0), (4, 0, 0, 0), (5, 0, 0, 0), (6, 0, 0, 0), (7, 0, 0, 0), (8, 0, 0, 0), (9, 0, 0, 0), (10, 0, 0, 0), (11, 0, 0, 0), (12, 0, 0, 0), (13, 0, 0, 0), (14, 0, 0, 0), (15, 0, 0, 0), (16, 0, 0, 0), (17, 0, 0, 0), (18, 0, 0, 0), (19, 0, 0, 0), (20, 0, 0, 0), (21, 0, 0, 0), (22, 0, 0, 0)] */
v_mul_f64 v[vgprValuC+112:vgprValuC+112+1], s[sgprAlpha:sgprAlpha+1], v[vgprValuC+0:vgprValuC+0+1] // Multiply MI out reg with alpha
v_mul_f64 v[vgprValuC+114:vgprValuC+114+1], s[sgprAlpha:sgprAlpha+1], v[vgprValuC+8:vgprValuC+8+1] // Multiply MI out reg with alpha
	;; [unrolled: 1-line block ×46, first 2 shown]

/* apply mask, calc new C and issue writes */
_global_store_b128 v[108:109], v[112:115], off,  glc slc // store D
_global_store_b128 v[110:111], v[116:119], off,  glc slc // store D
	;; [unrolled: 1-line block ×23, first 2 shown]
s_nop 0                                            // 1 wait state required when next inst writes vgprs held by previous dwordx4 store inst
/* optSingleColVgpr=0 optSharedColVgpr=0 optSGPRUsage=None optSrdIncForRow=0 */
s_sleep 7 // optimization: sync and wait
s_barrier

/******************************************/
/* Global Write Alpha Batch #1 (d1,d0,vc1,vc0) = */
/*    (23,0,0,0:vw2)                      */
/******************************************/

/* calc coords, apply mask, and issue loads (if necessary) */
/* (d1,vc1,d0,vc0)=(23,0,0,0) */
_v_add_co_u32 v97, vcc, v97, 4                     // coord1.1: coord1Vgpr += d1*sg1*VW + vc1
GLOBAL_OFFSET_D 108, 96, 97, 104
v_mov_b32 v104, v108                               // temp store offset 0
v_mov_b32 v105, v109                               // temp store offset 1
_v_add_co_u32 v108, vcc, v98, v104                 // addrVgpr = D + index*bytes (lo)
_v_addc_co_u32 v109, vcc, v99, v105, vcc           // addrVgpr = D + index*bytes (hi)

/* rC *= alpha batchElements=[(23, 0, 0, 0)] */
v_mul_f64 v[vgprValuC+112:vgprValuC+112+1], s[sgprAlpha:sgprAlpha+1], v[vgprValuC+86:vgprValuC+86+1] // Multiply MI out reg with alpha
v_mul_f64 v[vgprValuC+114:vgprValuC+114+1], s[sgprAlpha:sgprAlpha+1], v[vgprValuC+94:vgprValuC+94+1] // Multiply MI out reg with alpha

/* apply mask, calc new C and issue writes */
_global_store_b128 v[108:109], v[112:115], off,  glc slc // store D
s_nop 0                                            // 1 wait state required when next inst writes vgprs held by previous dwordx4 store inst
s_branch label_GW_End_34                           // jump to end
GW_B0_E1_26:

/* edge=1, allocate 56 sgpr. perBatchTmpS=4 perBatchMaskS=0 perElementMaskS=2 elementsPerBatch=26 */
/* optSingleColVgpr=0 optSharedColVgpr=0 optSGPRUsage=None optSrdIncForRow=0 */
s_sleep 7 // optimization: sync and wait
s_barrier

/******************************************/
/* Global Write Alpha Edge Batch #0 (d1,d0,vc1,vc0) = */
/*    (0,0,0,0:vw1); (0,0,0,1:vw1); (1,0,0,0:vw1); (1,0,0,1:vw1); (2,0,0,0:vw1); (2,0,0,1:vw1); (3,0,0,0:vw1); (3,0,0,1:vw1); (4,0,0,0:vw1); (4,0,0,1:vw1); (5,0,0,0:vw1); (5,0,0,1:vw1); (6,0,0,0:vw1); (6,0,0,1:vw1); (7,0,0,0:vw1); (7,0,0,1:vw1); (8,0,0,0:vw1); (8,0,0,1:vw1); (9,0,0,0:vw1); (9,0,0,1:vw1); (10,0,0,0:vw1); (10,0,0,1:vw1); (11,0,0,0:vw1); (11,0,0,1:vw1); (12,0,0,0:vw1); (12,0,0,1:vw1) */
/******************************************/

/* calc coords, apply mask, and issue loads (if necessary) */
/* (d1,vc1,d0,vc0)=(0,0,0,0) */
GLOBAL_OFFSET_D 108, 96, 97, 104
v_mov_b32 v104, v108                               // temp store offset 0
v_mov_b32 v105, v109                               // temp store offset 1
v_cmp_lt_u32 s[46:47], v96, s[sgprSizesFree+0]     // coord0 < size0
v_cmp_lt_u32 s[48:49], v97, s[sgprSizesFree+1]     // coord1 < size1
s_and_b64 s[50:51], s[46:47], s[48:49]             // in0 && in1
_v_add_co_u32 v108, vcc, v98, v104                 // addrVgpr = D + index*bytes (lo)
_v_addc_co_u32 v109, vcc, v99, v105, vcc           // addrVgpr = D + index*bytes (hi)
/* (d1,vc1,d0,vc0)=(0,0,0,1) */
_v_add_co_u32 v102, vcc, v96, 1                    // coord0.1: coord0 += d0*sg0*VW + vc0
GLOBAL_OFFSET_D 112, 102, 97, 104
v_mov_b32 v104, v112                               // temp store offset 0
v_mov_b32 v105, v113                               // temp store offset 1
v_cmp_lt_u32 s[46:47], v102, s[sgprSizesFree+0]    // coord0 < size0
v_cmp_lt_u32 s[48:49], v97, s[sgprSizesFree+1]     // coord1 < size1
s_and_b64 s[52:53], s[46:47], s[48:49]             // in0 && in1
_v_add_co_u32 v112, vcc, v98, v104                 // addrVgpr = D + index*bytes (lo)
_v_addc_co_u32 v113, vcc, v99, v105, vcc           // addrVgpr = D + index*bytes (hi)
/* (d1,vc1,d0,vc0)=(1,0,0,0) */
_v_add_co_u32 v97, vcc, v97, 4                     // coord1.1: coord1Vgpr += d1*sg1*VW + vc1
GLOBAL_OFFSET_D 116, 96, 97, 104
v_mov_b32 v104, v116                               // temp store offset 0
v_mov_b32 v105, v117                               // temp store offset 1
v_cmp_lt_u32 s[46:47], v96, s[sgprSizesFree+0]     // coord0 < size0
v_cmp_lt_u32 s[48:49], v97, s[sgprSizesFree+1]     // coord1 < size1
s_and_b64 s[54:55], s[46:47], s[48:49]             // in0 && in1
_v_add_co_u32 v116, vcc, v98, v104                 // addrVgpr = D + index*bytes (lo)
_v_addc_co_u32 v117, vcc, v99, v105, vcc           // addrVgpr = D + index*bytes (hi)
/* (d1,vc1,d0,vc0)=(1,0,0,1) */
_v_add_co_u32 v102, vcc, v96, 1                    // coord0.1: coord0 += d0*sg0*VW + vc0
GLOBAL_OFFSET_D 120, 102, 97, 104
v_mov_b32 v104, v120                               // temp store offset 0
v_mov_b32 v105, v121                               // temp store offset 1
v_cmp_lt_u32 s[46:47], v102, s[sgprSizesFree+0]    // coord0 < size0
v_cmp_lt_u32 s[48:49], v97, s[sgprSizesFree+1]     // coord1 < size1
s_and_b64 s[56:57], s[46:47], s[48:49]             // in0 && in1
_v_add_co_u32 v120, vcc, v98, v104                 // addrVgpr = D + index*bytes (lo)
_v_addc_co_u32 v121, vcc, v99, v105, vcc           // addrVgpr = D + index*bytes (hi)
/* (d1,vc1,d0,vc0)=(2,0,0,0) */
_v_add_co_u32 v97, vcc, v97, 4                     // coord1.1: coord1Vgpr += d1*sg1*VW + vc1
	;; [unrolled: 20-line block ×12, first 2 shown]
GLOBAL_OFFSET_D 204, 96, 97, 104
v_mov_b32 v104, v204                               // temp store offset 0
v_mov_b32 v105, v205                               // temp store offset 1
v_cmp_lt_u32 s[46:47], v96, s[sgprSizesFree+0]     // coord0 < size0
v_cmp_lt_u32 s[48:49], v97, s[sgprSizesFree+1]     // coord1 < size1
s_and_b64 s[98:99], s[46:47], s[48:49]             // in0 && in1
_v_add_co_u32 v204, vcc, v98, v104                 // addrVgpr = D + index*bytes (lo)
_v_addc_co_u32 v205, vcc, v99, v105, vcc           // addrVgpr = D + index*bytes (hi)
/* (d1,vc1,d0,vc0)=(12,0,0,1) */
_v_add_co_u32 v102, vcc, v96, 1                    // coord0.1: coord0 += d0*sg0*VW + vc0
GLOBAL_OFFSET_D 212, 102, 97, 104
v_mov_b32 v104, v212                               // temp store offset 0
v_mov_b32 v105, v213                               // temp store offset 1
v_cmp_lt_u32 s[46:47], v102, s[sgprSizesFree+0]    // coord0 < size0
v_cmp_lt_u32 s[48:49], v97, s[sgprSizesFree+1]     // coord1 < size1
s_and_b64 s[100:101], s[46:47], s[48:49]           // in0 && in1
_v_add_co_u32 v212, vcc, v98, v104                 // addrVgpr = D + index*bytes (lo)
_v_addc_co_u32 v213, vcc, v99, v105, vcc           // addrVgpr = D + index*bytes (hi)

/* rC *= alpha batchElements=[(0, 0, 0, 0), (0, 0, 0, 1), (1, 0, 0, 0), (1, 0, 0, 1), (2, 0, 0, 0), (2, 0, 0, 1), (3, 0, 0, 0), (3, 0, 0, 1), (4, 0, 0, 0), (4, 0, 0, 1), (5, 0, 0, 0), (5, 0, 0, 1), (6, 0, 0, 0), (6, 0, 0, 1), (7, 0, 0, 0), (7, 0, 0, 1), (8, 0, 0, 0), (8, 0, 0, 1), (9, 0, 0, 0), (9, 0, 0, 1), (10, 0, 0, 0), (10, 0, 0, 1), (11, 0, 0, 0), (11, 0, 0, 1), (12, 0, 0, 0), (12, 0, 0, 1)] */
v_mul_f64 v[vgprValuC+110:vgprValuC+110+1], s[sgprAlpha:sgprAlpha+1], v[vgprValuC+0:vgprValuC+0+1] // Multiply MI out reg with alpha
v_mul_f64 v[vgprValuC+114:vgprValuC+114+1], s[sgprAlpha:sgprAlpha+1], v[vgprValuC+8:vgprValuC+8+1] // Multiply MI out reg with alpha
	;; [unrolled: 1-line block ×26, first 2 shown]

/* apply mask, calc new C and issue writes */
s_mov_b64 exec, s[50:51]                           // sgprs -> exec
_global_store_b64 v[108:109], v[110:111], off,  glc slc // store D
s_mov_b64 exec, s[52:53]                           // sgprs -> exec
_global_store_b64 v[112:113], v[114:115], off,  glc slc // store D
	;; [unrolled: 2-line block ×25, first 2 shown]
s_mov_b64 exec, s[100:101]                         // sgprs -> exec
_global_store_b64 v[212:213], v[214:215], off,  glc slc // store D
s_mov_b64 exec, -1                                 // full mask -> exec
s_nop 0                                            // 1 wait state required when next inst writes vgprs held by previous dwordx4 store inst
/* optSingleColVgpr=0 optSharedColVgpr=0 optSGPRUsage=None optSrdIncForRow=0 */
s_sleep 7 // optimization: sync and wait
s_barrier

/******************************************/
/* Global Write Alpha Edge Batch #1 (d1,d0,vc1,vc0) = */
/*    (13,0,0,0:vw1); (13,0,0,1:vw1); (14,0,0,0:vw1); (14,0,0,1:vw1); (15,0,0,0:vw1); (15,0,0,1:vw1); (16,0,0,0:vw1); (16,0,0,1:vw1); (17,0,0,0:vw1); (17,0,0,1:vw1); (18,0,0,0:vw1); (18,0,0,1:vw1); (19,0,0,0:vw1); (19,0,0,1:vw1); (20,0,0,0:vw1); (20,0,0,1:vw1); (21,0,0,0:vw1); (21,0,0,1:vw1); (22,0,0,0:vw1); (22,0,0,1:vw1); (23,0,0,0:vw1); (23,0,0,1:vw1) */
/******************************************/

/* calc coords, apply mask, and issue loads (if necessary) */
/* (d1,vc1,d0,vc0)=(13,0,0,0) */
_v_add_co_u32 v97, vcc, v97, 4                     // coord1.1: coord1Vgpr += d1*sg1*VW + vc1
GLOBAL_OFFSET_D 108, 96, 97, 104
v_mov_b32 v104, v108                               // temp store offset 0
v_mov_b32 v105, v109                               // temp store offset 1
v_cmp_lt_u32 s[46:47], v96, s[sgprSizesFree+0]     // coord0 < size0
v_cmp_lt_u32 s[48:49], v97, s[sgprSizesFree+1]     // coord1 < size1
s_and_b64 s[50:51], s[46:47], s[48:49]             // in0 && in1
_v_add_co_u32 v108, vcc, v98, v104                 // addrVgpr = D + index*bytes (lo)
_v_addc_co_u32 v109, vcc, v99, v105, vcc           // addrVgpr = D + index*bytes (hi)
/* (d1,vc1,d0,vc0)=(13,0,0,1) */
_v_add_co_u32 v102, vcc, v96, 1                    // coord0.1: coord0 += d0*sg0*VW + vc0
GLOBAL_OFFSET_D 112, 102, 97, 104
v_mov_b32 v104, v112                               // temp store offset 0
v_mov_b32 v105, v113                               // temp store offset 1
v_cmp_lt_u32 s[46:47], v102, s[sgprSizesFree+0]    // coord0 < size0
v_cmp_lt_u32 s[48:49], v97, s[sgprSizesFree+1]     // coord1 < size1
s_and_b64 s[52:53], s[46:47], s[48:49]             // in0 && in1
_v_add_co_u32 v112, vcc, v98, v104                 // addrVgpr = D + index*bytes (lo)
_v_addc_co_u32 v113, vcc, v99, v105, vcc           // addrVgpr = D + index*bytes (hi)
/* (d1,vc1,d0,vc0)=(14,0,0,0) */
_v_add_co_u32 v97, vcc, v97, 4                     // coord1.1: coord1Vgpr += d1*sg1*VW + vc1
GLOBAL_OFFSET_D 116, 96, 97, 104
v_mov_b32 v104, v116                               // temp store offset 0
v_mov_b32 v105, v117                               // temp store offset 1
v_cmp_lt_u32 s[46:47], v96, s[sgprSizesFree+0]     // coord0 < size0
v_cmp_lt_u32 s[48:49], v97, s[sgprSizesFree+1]     // coord1 < size1
s_and_b64 s[54:55], s[46:47], s[48:49]             // in0 && in1
_v_add_co_u32 v116, vcc, v98, v104                 // addrVgpr = D + index*bytes (lo)
_v_addc_co_u32 v117, vcc, v99, v105, vcc           // addrVgpr = D + index*bytes (hi)
/* (d1,vc1,d0,vc0)=(14,0,0,1) */
_v_add_co_u32 v102, vcc, v96, 1                    // coord0.1: coord0 += d0*sg0*VW + vc0
GLOBAL_OFFSET_D 120, 102, 97, 104
v_mov_b32 v104, v120                               // temp store offset 0
v_mov_b32 v105, v121                               // temp store offset 1
v_cmp_lt_u32 s[46:47], v102, s[sgprSizesFree+0]    // coord0 < size0
v_cmp_lt_u32 s[48:49], v97, s[sgprSizesFree+1]     // coord1 < size1
s_and_b64 s[56:57], s[46:47], s[48:49]             // in0 && in1
_v_add_co_u32 v120, vcc, v98, v104                 // addrVgpr = D + index*bytes (lo)
_v_addc_co_u32 v121, vcc, v99, v105, vcc           // addrVgpr = D + index*bytes (hi)
	;; [unrolled: 20-line block ×11, first 2 shown]

/* rC *= alpha batchElements=[(13, 0, 0, 0), (13, 0, 0, 1), (14, 0, 0, 0), (14, 0, 0, 1), (15, 0, 0, 0), (15, 0, 0, 1), (16, 0, 0, 0), (16, 0, 0, 1), (17, 0, 0, 0), (17, 0, 0, 1), (18, 0, 0, 0), (18, 0, 0, 1), (19, 0, 0, 0), (19, 0, 0, 1), (20, 0, 0, 0), (20, 0, 0, 1), (21, 0, 0, 0), (21, 0, 0, 1), (22, 0, 0, 0), (22, 0, 0, 1), (23, 0, 0, 0), (23, 0, 0, 1)] */
v_mul_f64 v[vgprValuC+110:vgprValuC+110+1], s[sgprAlpha:sgprAlpha+1], v[vgprValuC+50:vgprValuC+50+1] // Multiply MI out reg with alpha
v_mul_f64 v[vgprValuC+114:vgprValuC+114+1], s[sgprAlpha:sgprAlpha+1], v[vgprValuC+58:vgprValuC+58+1] // Multiply MI out reg with alpha
	;; [unrolled: 1-line block ×22, first 2 shown]

/* apply mask, calc new C and issue writes */
s_mov_b64 exec, s[50:51]                           // sgprs -> exec
_global_store_b64 v[108:109], v[110:111], off,  glc slc // store D
s_mov_b64 exec, s[52:53]                           // sgprs -> exec
_global_store_b64 v[112:113], v[114:115], off,  glc slc // store D
	;; [unrolled: 2-line block ×22, first 2 shown]
s_mov_b64 exec, -1                                 // full mask -> exec
s_nop 0                                            // 1 wait state required when next inst writes vgprs held by previous dwordx4 store inst
s_branch label_GW_End_34                           // jump to end
GW_Beta_35:
s_and_b32 s20, 127, s[sgprSizeI]                   // s20 = s[sgprSizeI] % 128
s_add_u32 s21, -0x1, s[sgprNumWorkGroups0]         // 
s_cmp_ge_u32 s[sgprWorkGroup0], s21                // wg0 >= nwg0-1 ?
s_cselect_b32 s20, s20, 0                          // set rMT0
s_cmpk_gt_u32 s20, 0x0                             // rMT0 > 0
s_cbranch_scc1 GW_B1_E1_33                         // jump if edges required
s_mov_b32 s23, 0x0                                 // STATIC_DIV: divisior=96
s_mul_i32 s22, 0x555, s[sgprSizeJ]                 // tmp1 = dividend * magic hi
s_lshl_b64 s[22:23], s[22:23], 0x10                // left shift 16 bits
s_mul_i32 s21, s[sgprSizeJ], 0x5556                // tmp0 = dividend * magic lo
s_add_u32 s22, s21, s22                            // add lo
s_addc_u32 s23, s23, 0x0                           // add hi
s_lshr_b64 s[22:23], s[22:23], 0x21                // tmp1 = (dividend * magic) << shift
s_mov_b32 s21, s22                                 // quotient
s_mul_i32 s22, s21, 0x60                           // quotient*divisor
s_sub_u32 s20, s[sgprSizeJ], s22                   // rReg = dividend - quotient*divisor
s_add_u32 s21, -0x1, s[sgprNumWorkGroups1]         // 
s_cmp_ge_u32 s[sgprWorkGroup1], s21                // wg1 >= nwg1-1
s_cselect_b32 s20, s20, 0                          // set rMT1
s_cmpk_gt_u32 s20, 0x0                             // rMT1 > 0
s_cbranch_scc1 GW_B1_E1_33                         // jump if edges required
GW_B1_E0_30:

/* edge=0, allocate 32 sgpr. perBatchTmpS=4 perBatchMaskS=0 perElementMaskS=2 elementsPerBatch=14 */
/* optSingleColVgpr=0 optSharedColVgpr=0 optSGPRUsage=None optSrdIncForRow=0 */
s_sleep 7 // optimization: sync and wait
s_barrier

/******************************************/
/* Global Write Alpha Beta Batch #0 (d1,d0,vc1,vc0) = */
/*    (0,0,0,0:vw2); (1,0,0,0:vw2); (2,0,0,0:vw2); (3,0,0,0:vw2); (4,0,0,0:vw2); (5,0,0,0:vw2); (6,0,0,0:vw2); (7,0,0,0:vw2); (8,0,0,0:vw2); (9,0,0,0:vw2); (10,0,0,0:vw2); (11,0,0,0:vw2); (12,0,0,0:vw2); (13,0,0,0:vw2) */
/******************************************/

/* calc coords, apply mask, and issue loads (if necessary) */

/* rC *= alpha batchElements=[(0, 0, 0, 0), (1, 0, 0, 0), (2, 0, 0, 0), (3, 0, 0, 0), (4, 0, 0, 0), (5, 0, 0, 0), (6, 0, 0, 0), (7, 0, 0, 0), (8, 0, 0, 0), (9, 0, 0, 0), (10, 0, 0, 0), (11, 0, 0, 0), (12, 0, 0, 0), (13, 0, 0, 0)] */
v_mul_f64 v[vgprValuC+116:vgprValuC+116+1], s[sgprAlpha:sgprAlpha+1], v[vgprValuC+0:vgprValuC+0+1] // Multiply MI out reg with alpha
v_mul_f64 v[vgprValuC+118:vgprValuC+118+1], s[sgprAlpha:sgprAlpha+1], v[vgprValuC+8:vgprValuC+8+1] // Multiply MI out reg with alpha
	;; [unrolled: 1-line block ×28, first 2 shown]
/* (d1,vc1,d0,vc0)=(0,0,0,0) */
GLOBAL_OFFSET_C 108, 96, 97, 104
v_mov_b32 v104, v108                               // temp store offset 0
v_mov_b32 v105, v109                               // temp store offset 1
_v_add_co_u32 v108, vcc, v100, v104                // addrVgpr = C + index*bytes (lo)
_v_addc_co_u32 v109, vcc, v101, v105, vcc          // addrVgpr = C + index*bytes (hi)
_global_load_b128 v[112:115], v[108:109], off, offset:0,  glc slc // load C for beta calc
GLOBAL_OFFSET_D 108, 96, 97, 104
v_mov_b32 v104, v108                               // temp store offset 0
v_mov_b32 v105, v109                               // temp store offset 1
_v_add_co_u32 v108, vcc, v98, v104                 // addrVgpr = D + index*bytes (lo)
_v_addc_co_u32 v109, vcc, v99, v105, vcc           // addrVgpr = D + index*bytes (hi)
/* (d1,vc1,d0,vc0)=(1,0,0,0) */
_v_add_co_u32 v97, vcc, v97, 4                     // coord1.1: coord1Vgpr += d1*sg1*VW + vc1
GLOBAL_OFFSET_C 110, 96, 97, 104
v_mov_b32 v104, v110                               // temp store offset 0
v_mov_b32 v105, v111                               // temp store offset 1
_v_add_co_u32 v110, vcc, v100, v104                // addrVgpr = C + index*bytes (lo)
_v_addc_co_u32 v111, vcc, v101, v105, vcc          // addrVgpr = C + index*bytes (hi)
_global_load_b128 v[120:123], v[110:111], off, offset:0,  glc slc // load C for beta calc
GLOBAL_OFFSET_D 110, 96, 97, 104
v_mov_b32 v104, v110                               // temp store offset 0
v_mov_b32 v105, v111                               // temp store offset 1
_v_add_co_u32 v110, vcc, v98, v104                 // addrVgpr = D + index*bytes (lo)
_v_addc_co_u32 v111, vcc, v99, v105, vcc           // addrVgpr = D + index*bytes (hi)
/* (d1,vc1,d0,vc0)=(2,0,0,0) */
_v_add_co_u32 v97, vcc, v97, 4                     // coord1.1: coord1Vgpr += d1*sg1*VW + vc1
	;; [unrolled: 13-line block ×13, first 2 shown]
GLOBAL_OFFSET_C 234, 96, 97, 104
v_mov_b32 v104, v234                               // temp store offset 0
v_mov_b32 v105, v235                               // temp store offset 1
_v_add_co_u32 v234, vcc, v100, v104                // addrVgpr = C + index*bytes (lo)
_v_addc_co_u32 v235, vcc, v101, v105, vcc          // addrVgpr = C + index*bytes (hi)
_global_load_b128 v[244:247], v[234:235], off, offset:0,  glc slc // load C for beta calc
GLOBAL_OFFSET_D 234, 96, 97, 104
v_mov_b32 v104, v234                               // temp store offset 0
v_mov_b32 v105, v235                               // temp store offset 1
_v_add_co_u32 v234, vcc, v98, v104                 // addrVgpr = D + index*bytes (lo)
_v_addc_co_u32 v235, vcc, v99, v105, vcc           // addrVgpr = D + index*bytes (hi)
s_sleep 7 // optimization: sync and wait
s_barrier
s_waitcnt vmcnt(0)                                 // wait C

/* apply mask, calc new C and issue writes */
v_fma_f64 v[vgprValuC+116:vgprValuC+116+1], v[112:113], s[sgprBeta:sgprBeta+1], v[vgprValuC+116:vgprValuC+116+1] // finalSum = sum*alpha + C*beta
v_fma_f64 v[vgprValuC+118:vgprValuC+118+1], v[114:115], s[sgprBeta:sgprBeta+1], v[vgprValuC+118:vgprValuC+118+1] // finalSum = sum*alpha + C*beta
_global_store_b128 v[108:109], v[116:119], off,  glc slc // store D
v_fma_f64 v[vgprValuC+124:vgprValuC+124+1], v[120:121], s[sgprBeta:sgprBeta+1], v[vgprValuC+124:vgprValuC+124+1] // finalSum = sum*alpha + C*beta
v_fma_f64 v[vgprValuC+126:vgprValuC+126+1], v[122:123], s[sgprBeta:sgprBeta+1], v[vgprValuC+126:vgprValuC+126+1] // finalSum = sum*alpha + C*beta
_global_store_b128 v[110:111], v[124:127], off,  glc slc // store D
	;; [unrolled: 3-line block ×14, first 2 shown]
s_nop 0                                            // 1 wait state required when next inst writes vgprs held by previous dwordx4 store inst
/* optSingleColVgpr=0 optSharedColVgpr=0 optSGPRUsage=None optSrdIncForRow=0 */
s_sleep 7 // optimization: sync and wait
s_barrier

/******************************************/
/* Global Write Alpha Beta Batch #1 (d1,d0,vc1,vc0) = */
/*    (14,0,0,0:vw2); (15,0,0,0:vw2); (16,0,0,0:vw2); (17,0,0,0:vw2); (18,0,0,0:vw2); (19,0,0,0:vw2); (20,0,0,0:vw2); (21,0,0,0:vw2); (22,0,0,0:vw2); (23,0,0,0:vw2) */
/******************************************/

/* calc coords, apply mask, and issue loads (if necessary) */

/* rC *= alpha batchElements=[(14, 0, 0, 0), (15, 0, 0, 0), (16, 0, 0, 0), (17, 0, 0, 0), (18, 0, 0, 0), (19, 0, 0, 0), (20, 0, 0, 0), (21, 0, 0, 0), (22, 0, 0, 0), (23, 0, 0, 0)] */
v_mul_f64 v[vgprValuC+116:vgprValuC+116+1], s[sgprAlpha:sgprAlpha+1], v[vgprValuC+52:vgprValuC+52+1] // Multiply MI out reg with alpha
v_mul_f64 v[vgprValuC+118:vgprValuC+118+1], s[sgprAlpha:sgprAlpha+1], v[vgprValuC+60:vgprValuC+60+1] // Multiply MI out reg with alpha
	;; [unrolled: 1-line block ×20, first 2 shown]
/* (d1,vc1,d0,vc0)=(14,0,0,0) */
_v_add_co_u32 v97, vcc, v97, 4                     // coord1.1: coord1Vgpr += d1*sg1*VW + vc1
GLOBAL_OFFSET_C 108, 96, 97, 104
v_mov_b32 v104, v108                               // temp store offset 0
v_mov_b32 v105, v109                               // temp store offset 1
_v_add_co_u32 v108, vcc, v100, v104                // addrVgpr = C + index*bytes (lo)
_v_addc_co_u32 v109, vcc, v101, v105, vcc          // addrVgpr = C + index*bytes (hi)
_global_load_b128 v[112:115], v[108:109], off, offset:0,  glc slc // load C for beta calc
GLOBAL_OFFSET_D 108, 96, 97, 104
v_mov_b32 v104, v108                               // temp store offset 0
v_mov_b32 v105, v109                               // temp store offset 1
_v_add_co_u32 v108, vcc, v98, v104                 // addrVgpr = D + index*bytes (lo)
_v_addc_co_u32 v109, vcc, v99, v105, vcc           // addrVgpr = D + index*bytes (hi)
/* (d1,vc1,d0,vc0)=(15,0,0,0) */
_v_add_co_u32 v97, vcc, v97, 4                     // coord1.1: coord1Vgpr += d1*sg1*VW + vc1
GLOBAL_OFFSET_C 110, 96, 97, 104
v_mov_b32 v104, v110                               // temp store offset 0
v_mov_b32 v105, v111                               // temp store offset 1
_v_add_co_u32 v110, vcc, v100, v104                // addrVgpr = C + index*bytes (lo)
_v_addc_co_u32 v111, vcc, v101, v105, vcc          // addrVgpr = C + index*bytes (hi)
_global_load_b128 v[120:123], v[110:111], off, offset:0,  glc slc // load C for beta calc
GLOBAL_OFFSET_D 110, 96, 97, 104
v_mov_b32 v104, v110                               // temp store offset 0
v_mov_b32 v105, v111                               // temp store offset 1
_v_add_co_u32 v110, vcc, v98, v104                 // addrVgpr = D + index*bytes (lo)
_v_addc_co_u32 v111, vcc, v99, v105, vcc           // addrVgpr = D + index*bytes (hi)
	;; [unrolled: 13-line block ×10, first 2 shown]
s_sleep 7 // optimization: sync and wait
s_barrier
s_waitcnt vmcnt(0)                                 // wait C

/* apply mask, calc new C and issue writes */
v_fma_f64 v[vgprValuC+116:vgprValuC+116+1], v[112:113], s[sgprBeta:sgprBeta+1], v[vgprValuC+116:vgprValuC+116+1] // finalSum = sum*alpha + C*beta
v_fma_f64 v[vgprValuC+118:vgprValuC+118+1], v[114:115], s[sgprBeta:sgprBeta+1], v[vgprValuC+118:vgprValuC+118+1] // finalSum = sum*alpha + C*beta
_global_store_b128 v[108:109], v[116:119], off,  glc slc // store D
v_fma_f64 v[vgprValuC+124:vgprValuC+124+1], v[120:121], s[sgprBeta:sgprBeta+1], v[vgprValuC+124:vgprValuC+124+1] // finalSum = sum*alpha + C*beta
v_fma_f64 v[vgprValuC+126:vgprValuC+126+1], v[122:123], s[sgprBeta:sgprBeta+1], v[vgprValuC+126:vgprValuC+126+1] // finalSum = sum*alpha + C*beta
_global_store_b128 v[110:111], v[124:127], off,  glc slc // store D
	;; [unrolled: 3-line block ×10, first 2 shown]
s_nop 0                                            // 1 wait state required when next inst writes vgprs held by previous dwordx4 store inst
s_branch label_GW_End_34                           // jump to end
GW_B1_E1_33:

/* edge=1, allocate 50 sgpr. perBatchTmpS=4 perBatchMaskS=0 perElementMaskS=2 elementsPerBatch=23 */
/* optSingleColVgpr=0 optSharedColVgpr=0 optSGPRUsage=None optSrdIncForRow=0 */
s_sleep 7 // optimization: sync and wait
s_barrier

/******************************************/
/* Global Write Alpha Beta Edge Batch #0 (d1,d0,vc1,vc0) = */
/*    (0,0,0,0:vw1); (0,0,0,1:vw1); (1,0,0,0:vw1); (1,0,0,1:vw1); (2,0,0,0:vw1); (2,0,0,1:vw1); (3,0,0,0:vw1); (3,0,0,1:vw1); (4,0,0,0:vw1); (4,0,0,1:vw1); (5,0,0,0:vw1); (5,0,0,1:vw1); (6,0,0,0:vw1); (6,0,0,1:vw1); (7,0,0,0:vw1); (7,0,0,1:vw1); (8,0,0,0:vw1); (8,0,0,1:vw1); (9,0,0,0:vw1); (9,0,0,1:vw1); (10,0,0,0:vw1); (10,0,0,1:vw1); (11,0,0,0:vw1) */
/******************************************/

/* calc coords, apply mask, and issue loads (if necessary) */

/* rC *= alpha batchElements=[(0, 0, 0, 0), (0, 0, 0, 1), (1, 0, 0, 0), (1, 0, 0, 1), (2, 0, 0, 0), (2, 0, 0, 1), (3, 0, 0, 0), (3, 0, 0, 1), (4, 0, 0, 0), (4, 0, 0, 1), (5, 0, 0, 0), (5, 0, 0, 1), (6, 0, 0, 0), (6, 0, 0, 1), (7, 0, 0, 0), (7, 0, 0, 1), (8, 0, 0, 0), (8, 0, 0, 1), (9, 0, 0, 0), (9, 0, 0, 1), (10, 0, 0, 0), (10, 0, 0, 1), (11, 0, 0, 0)] */
v_mul_f64 v[vgprValuC+112:vgprValuC+112+1], s[sgprAlpha:sgprAlpha+1], v[vgprValuC+0:vgprValuC+0+1] // Multiply MI out reg with alpha
v_mul_f64 v[vgprValuC+118:vgprValuC+118+1], s[sgprAlpha:sgprAlpha+1], v[vgprValuC+8:vgprValuC+8+1] // Multiply MI out reg with alpha
	;; [unrolled: 1-line block ×23, first 2 shown]
/* (d1,vc1,d0,vc0)=(0,0,0,0) */
GLOBAL_OFFSET_C 108, 96, 97, 104
v_mov_b32 v104, v108                               // temp store offset 0
v_mov_b32 v105, v109                               // temp store offset 1
v_cmp_lt_u32 s[46:47], v96, s[sgprSizesFree+0]     // coord0 < size0
v_cmp_lt_u32 s[48:49], v97, s[sgprSizesFree+1]     // coord1 < size1
s_and_b64 s[50:51], s[46:47], s[48:49]             // in0 && in1
s_mov_b64 exec, s[50:51]                           // sgprs -> exec
_v_add_co_u32 v108, vcc, v100, v104                // addrVgpr = C + index*bytes (lo)
_v_addc_co_u32 v109, vcc, v101, v105, vcc          // addrVgpr = C + index*bytes (hi)
_global_load_b64 v[110:111], v[108:109], off, offset:0,  glc slc // load C for beta calc
GLOBAL_OFFSET_D 108, 96, 97, 104
v_mov_b32 v104, v108                               // temp store offset 0
v_mov_b32 v105, v109                               // temp store offset 1
v_cmp_lt_u32 s[46:47], v96, s[sgprSizesFree+0]     // coord0 < size0
v_cmp_lt_u32 s[48:49], v97, s[sgprSizesFree+1]     // coord1 < size1
s_and_b64 s[50:51], s[46:47], s[48:49]             // in0 && in1
s_mov_b64 exec, s[50:51]                           // sgprs -> exec
_v_add_co_u32 v108, vcc, v98, v104                 // addrVgpr = D + index*bytes (lo)
_v_addc_co_u32 v109, vcc, v99, v105, vcc           // addrVgpr = D + index*bytes (hi)
s_mov_b64 exec, -1                                 // full mask -1 -> exec
/* (d1,vc1,d0,vc0)=(0,0,0,1) */
_v_add_co_u32 v102, vcc, v96, 1                    // coord0.1: coord0 += d0*sg0*VW + vc0
GLOBAL_OFFSET_C 114, 102, 97, 104
v_mov_b32 v104, v114                               // temp store offset 0
v_mov_b32 v105, v115                               // temp store offset 1
v_cmp_lt_u32 s[46:47], v102, s[sgprSizesFree+0]    // coord0 < size0
v_cmp_lt_u32 s[48:49], v97, s[sgprSizesFree+1]     // coord1 < size1
s_and_b64 s[52:53], s[46:47], s[48:49]             // in0 && in1
s_mov_b64 exec, s[52:53]                           // sgprs -> exec
_v_add_co_u32 v114, vcc, v100, v104                // addrVgpr = C + index*bytes (lo)
_v_addc_co_u32 v115, vcc, v101, v105, vcc          // addrVgpr = C + index*bytes (hi)
_global_load_b64 v[116:117], v[114:115], off, offset:0,  glc slc // load C for beta calc
GLOBAL_OFFSET_D 114, 102, 97, 104
v_mov_b32 v104, v114                               // temp store offset 0
v_mov_b32 v105, v115                               // temp store offset 1
v_cmp_lt_u32 s[46:47], v102, s[sgprSizesFree+0]    // coord0 < size0
v_cmp_lt_u32 s[48:49], v97, s[sgprSizesFree+1]     // coord1 < size1
s_and_b64 s[52:53], s[46:47], s[48:49]             // in0 && in1
s_mov_b64 exec, s[52:53]                           // sgprs -> exec
_v_add_co_u32 v114, vcc, v98, v104                 // addrVgpr = D + index*bytes (lo)
_v_addc_co_u32 v115, vcc, v99, v105, vcc           // addrVgpr = D + index*bytes (hi)
s_mov_b64 exec, -1                                 // full mask -1 -> exec
/* (d1,vc1,d0,vc0)=(1,0,0,0) */
_v_add_co_u32 v97, vcc, v97, 4                     // coord1.1: coord1Vgpr += d1*sg1*VW + vc1
GLOBAL_OFFSET_C 120, 96, 97, 104
v_mov_b32 v104, v120                               // temp store offset 0
v_mov_b32 v105, v121                               // temp store offset 1
v_cmp_lt_u32 s[46:47], v96, s[sgprSizesFree+0]     // coord0 < size0
v_cmp_lt_u32 s[48:49], v97, s[sgprSizesFree+1]     // coord1 < size1
s_and_b64 s[54:55], s[46:47], s[48:49]             // in0 && in1
s_mov_b64 exec, s[54:55]                           // sgprs -> exec
_v_add_co_u32 v120, vcc, v100, v104                // addrVgpr = C + index*bytes (lo)
_v_addc_co_u32 v121, vcc, v101, v105, vcc          // addrVgpr = C + index*bytes (hi)
_global_load_b64 v[122:123], v[120:121], off, offset:0,  glc slc // load C for beta calc
GLOBAL_OFFSET_D 120, 96, 97, 104
v_mov_b32 v104, v120                               // temp store offset 0
v_mov_b32 v105, v121                               // temp store offset 1
v_cmp_lt_u32 s[46:47], v96, s[sgprSizesFree+0]     // coord0 < size0
v_cmp_lt_u32 s[48:49], v97, s[sgprSizesFree+1]     // coord1 < size1
s_and_b64 s[54:55], s[46:47], s[48:49]             // in0 && in1
s_mov_b64 exec, s[54:55]                           // sgprs -> exec
_v_add_co_u32 v120, vcc, v98, v104                 // addrVgpr = D + index*bytes (lo)
_v_addc_co_u32 v121, vcc, v99, v105, vcc           // addrVgpr = D + index*bytes (hi)
s_mov_b64 exec, -1                                 // full mask -1 -> exec
/* (d1,vc1,d0,vc0)=(1,0,0,1) */
_v_add_co_u32 v102, vcc, v96, 1                    // coord0.1: coord0 += d0*sg0*VW + vc0
GLOBAL_OFFSET_C 126, 102, 97, 104
v_mov_b32 v104, v126                               // temp store offset 0
v_mov_b32 v105, v127                               // temp store offset 1
v_cmp_lt_u32 s[46:47], v102, s[sgprSizesFree+0]    // coord0 < size0
v_cmp_lt_u32 s[48:49], v97, s[sgprSizesFree+1]     // coord1 < size1
s_and_b64 s[56:57], s[46:47], s[48:49]             // in0 && in1
s_mov_b64 exec, s[56:57]                           // sgprs -> exec
_v_add_co_u32 v126, vcc, v100, v104                // addrVgpr = C + index*bytes (lo)
_v_addc_co_u32 v127, vcc, v101, v105, vcc          // addrVgpr = C + index*bytes (hi)
_global_load_b64 v[128:129], v[126:127], off, offset:0,  glc slc // load C for beta calc
GLOBAL_OFFSET_D 126, 102, 97, 104
v_mov_b32 v104, v126                               // temp store offset 0
v_mov_b32 v105, v127                               // temp store offset 1
v_cmp_lt_u32 s[46:47], v102, s[sgprSizesFree+0]    // coord0 < size0
v_cmp_lt_u32 s[48:49], v97, s[sgprSizesFree+1]     // coord1 < size1
s_and_b64 s[56:57], s[46:47], s[48:49]             // in0 && in1
s_mov_b64 exec, s[56:57]                           // sgprs -> exec
_v_add_co_u32 v126, vcc, v98, v104                 // addrVgpr = D + index*bytes (lo)
_v_addc_co_u32 v127, vcc, v99, v105, vcc           // addrVgpr = D + index*bytes (hi)
s_mov_b64 exec, -1                                 // full mask -1 -> exec
/* (d1,vc1,d0,vc0)=(2,0,0,0) */
_v_add_co_u32 v97, vcc, v97, 4                     // coord1.1: coord1Vgpr += d1*sg1*VW + vc1
	;; [unrolled: 44-line block ×11, first 2 shown]
GLOBAL_OFFSET_C 244, 96, 97, 104
v_mov_b32 v104, v244                               // temp store offset 0
v_mov_b32 v105, v245                               // temp store offset 1
v_cmp_lt_u32 s[46:47], v96, s[sgprSizesFree+0]     // coord0 < size0
v_cmp_lt_u32 s[48:49], v97, s[sgprSizesFree+1]     // coord1 < size1
s_and_b64 s[94:95], s[46:47], s[48:49]             // in0 && in1
s_mov_b64 exec, s[94:95]                           // sgprs -> exec
_v_add_co_u32 v244, vcc, v100, v104                // addrVgpr = C + index*bytes (lo)
_v_addc_co_u32 v245, vcc, v101, v105, vcc          // addrVgpr = C + index*bytes (hi)
_global_load_b64 v[246:247], v[244:245], off, offset:0,  glc slc // load C for beta calc
GLOBAL_OFFSET_D 244, 96, 97, 104
v_mov_b32 v104, v244                               // temp store offset 0
v_mov_b32 v105, v245                               // temp store offset 1
v_cmp_lt_u32 s[46:47], v96, s[sgprSizesFree+0]     // coord0 < size0
v_cmp_lt_u32 s[48:49], v97, s[sgprSizesFree+1]     // coord1 < size1
s_and_b64 s[94:95], s[46:47], s[48:49]             // in0 && in1
s_mov_b64 exec, s[94:95]                           // sgprs -> exec
_v_add_co_u32 v244, vcc, v98, v104                 // addrVgpr = D + index*bytes (lo)
_v_addc_co_u32 v245, vcc, v99, v105, vcc           // addrVgpr = D + index*bytes (hi)
s_mov_b64 exec, -1                                 // full mask -1 -> exec
s_sleep 7 // optimization: sync and wait
s_barrier
s_waitcnt vmcnt(0)                                 // wait C

/* apply mask, calc new C and issue writes */
s_mov_b64 exec, s[50:51]                           // sgprs -> exec
v_fma_f64 v[vgprValuC+112:vgprValuC+112+1], v[110:111], s[sgprBeta:sgprBeta+1], v[vgprValuC+112:vgprValuC+112+1] // finalSum = sum*alpha + C*beta
_global_store_b64 v[108:109], v[112:113], off,  glc slc // store D
s_mov_b64 exec, s[52:53]                           // sgprs -> exec
v_fma_f64 v[vgprValuC+118:vgprValuC+118+1], v[116:117], s[sgprBeta:sgprBeta+1], v[vgprValuC+118:vgprValuC+118+1] // finalSum = sum*alpha + C*beta
_global_store_b64 v[114:115], v[118:119], off,  glc slc // store D
	;; [unrolled: 3-line block ×23, first 2 shown]
s_mov_b64 exec, -1                                 // full mask -> exec
s_nop 0                                            // 1 wait state required when next inst writes vgprs held by previous dwordx4 store inst
/* optSingleColVgpr=0 optSharedColVgpr=0 optSGPRUsage=None optSrdIncForRow=0 */
s_sleep 7 // optimization: sync and wait
s_barrier

/******************************************/
/* Global Write Alpha Beta Edge Batch #1 (d1,d0,vc1,vc0) = */
/*    (11,0,0,1:vw1); (12,0,0,0:vw1); (12,0,0,1:vw1); (13,0,0,0:vw1); (13,0,0,1:vw1); (14,0,0,0:vw1); (14,0,0,1:vw1); (15,0,0,0:vw1); (15,0,0,1:vw1); (16,0,0,0:vw1); (16,0,0,1:vw1); (17,0,0,0:vw1); (17,0,0,1:vw1); (18,0,0,0:vw1); (18,0,0,1:vw1); (19,0,0,0:vw1); (19,0,0,1:vw1); (20,0,0,0:vw1); (20,0,0,1:vw1); (21,0,0,0:vw1); (21,0,0,1:vw1); (22,0,0,0:vw1); (22,0,0,1:vw1) */
/******************************************/

/* calc coords, apply mask, and issue loads (if necessary) */

/* rC *= alpha batchElements=[(11, 0, 0, 1), (12, 0, 0, 0), (12, 0, 0, 1), (13, 0, 0, 0), (13, 0, 0, 1), (14, 0, 0, 0), (14, 0, 0, 1), (15, 0, 0, 0), (15, 0, 0, 1), (16, 0, 0, 0), (16, 0, 0, 1), (17, 0, 0, 0), (17, 0, 0, 1), (18, 0, 0, 0), (18, 0, 0, 1), (19, 0, 0, 0), (19, 0, 0, 1), (20, 0, 0, 0), (20, 0, 0, 1), (21, 0, 0, 0), (21, 0, 0, 1), (22, 0, 0, 0), (22, 0, 0, 1)] */
v_mul_f64 v[vgprValuC+112:vgprValuC+112+1], s[sgprAlpha:sgprAlpha+1], v[vgprValuC+46:vgprValuC+46+1] // Multiply MI out reg with alpha
v_mul_f64 v[vgprValuC+118:vgprValuC+118+1], s[sgprAlpha:sgprAlpha+1], v[vgprValuC+48:vgprValuC+48+1] // Multiply MI out reg with alpha
	;; [unrolled: 1-line block ×23, first 2 shown]
/* (d1,vc1,d0,vc0)=(11,0,0,1) */
_v_add_co_u32 v102, vcc, v96, 1                    // coord0.1: coord0 += d0*sg0*VW + vc0
GLOBAL_OFFSET_C 108, 102, 97, 104
v_mov_b32 v104, v108                               // temp store offset 0
v_mov_b32 v105, v109                               // temp store offset 1
v_cmp_lt_u32 s[46:47], v102, s[sgprSizesFree+0]    // coord0 < size0
v_cmp_lt_u32 s[48:49], v97, s[sgprSizesFree+1]     // coord1 < size1
s_and_b64 s[50:51], s[46:47], s[48:49]             // in0 && in1
s_mov_b64 exec, s[50:51]                           // sgprs -> exec
_v_add_co_u32 v108, vcc, v100, v104                // addrVgpr = C + index*bytes (lo)
_v_addc_co_u32 v109, vcc, v101, v105, vcc          // addrVgpr = C + index*bytes (hi)
_global_load_b64 v[110:111], v[108:109], off, offset:0,  glc slc // load C for beta calc
GLOBAL_OFFSET_D 108, 102, 97, 104
v_mov_b32 v104, v108                               // temp store offset 0
v_mov_b32 v105, v109                               // temp store offset 1
v_cmp_lt_u32 s[46:47], v102, s[sgprSizesFree+0]    // coord0 < size0
v_cmp_lt_u32 s[48:49], v97, s[sgprSizesFree+1]     // coord1 < size1
s_and_b64 s[50:51], s[46:47], s[48:49]             // in0 && in1
s_mov_b64 exec, s[50:51]                           // sgprs -> exec
_v_add_co_u32 v108, vcc, v98, v104                 // addrVgpr = D + index*bytes (lo)
_v_addc_co_u32 v109, vcc, v99, v105, vcc           // addrVgpr = D + index*bytes (hi)
s_mov_b64 exec, -1                                 // full mask -1 -> exec
/* (d1,vc1,d0,vc0)=(12,0,0,0) */
_v_add_co_u32 v97, vcc, v97, 4                     // coord1.1: coord1Vgpr += d1*sg1*VW + vc1
GLOBAL_OFFSET_C 114, 96, 97, 104
v_mov_b32 v104, v114                               // temp store offset 0
v_mov_b32 v105, v115                               // temp store offset 1
v_cmp_lt_u32 s[46:47], v96, s[sgprSizesFree+0]     // coord0 < size0
v_cmp_lt_u32 s[48:49], v97, s[sgprSizesFree+1]     // coord1 < size1
s_and_b64 s[52:53], s[46:47], s[48:49]             // in0 && in1
s_mov_b64 exec, s[52:53]                           // sgprs -> exec
_v_add_co_u32 v114, vcc, v100, v104                // addrVgpr = C + index*bytes (lo)
_v_addc_co_u32 v115, vcc, v101, v105, vcc          // addrVgpr = C + index*bytes (hi)
_global_load_b64 v[116:117], v[114:115], off, offset:0,  glc slc // load C for beta calc
GLOBAL_OFFSET_D 114, 96, 97, 104
v_mov_b32 v104, v114                               // temp store offset 0
v_mov_b32 v105, v115                               // temp store offset 1
v_cmp_lt_u32 s[46:47], v96, s[sgprSizesFree+0]     // coord0 < size0
v_cmp_lt_u32 s[48:49], v97, s[sgprSizesFree+1]     // coord1 < size1
s_and_b64 s[52:53], s[46:47], s[48:49]             // in0 && in1
s_mov_b64 exec, s[52:53]                           // sgprs -> exec
_v_add_co_u32 v114, vcc, v98, v104                 // addrVgpr = D + index*bytes (lo)
_v_addc_co_u32 v115, vcc, v99, v105, vcc           // addrVgpr = D + index*bytes (hi)
s_mov_b64 exec, -1                                 // full mask -1 -> exec
/* (d1,vc1,d0,vc0)=(12,0,0,1) */
_v_add_co_u32 v102, vcc, v96, 1                    // coord0.1: coord0 += d0*sg0*VW + vc0
GLOBAL_OFFSET_C 120, 102, 97, 104
v_mov_b32 v104, v120                               // temp store offset 0
v_mov_b32 v105, v121                               // temp store offset 1
v_cmp_lt_u32 s[46:47], v102, s[sgprSizesFree+0]    // coord0 < size0
v_cmp_lt_u32 s[48:49], v97, s[sgprSizesFree+1]     // coord1 < size1
s_and_b64 s[54:55], s[46:47], s[48:49]             // in0 && in1
s_mov_b64 exec, s[54:55]                           // sgprs -> exec
_v_add_co_u32 v120, vcc, v100, v104                // addrVgpr = C + index*bytes (lo)
_v_addc_co_u32 v121, vcc, v101, v105, vcc          // addrVgpr = C + index*bytes (hi)
_global_load_b64 v[122:123], v[120:121], off, offset:0,  glc slc // load C for beta calc
GLOBAL_OFFSET_D 120, 102, 97, 104
v_mov_b32 v104, v120                               // temp store offset 0
v_mov_b32 v105, v121                               // temp store offset 1
v_cmp_lt_u32 s[46:47], v102, s[sgprSizesFree+0]    // coord0 < size0
v_cmp_lt_u32 s[48:49], v97, s[sgprSizesFree+1]     // coord1 < size1
s_and_b64 s[54:55], s[46:47], s[48:49]             // in0 && in1
s_mov_b64 exec, s[54:55]                           // sgprs -> exec
_v_add_co_u32 v120, vcc, v98, v104                 // addrVgpr = D + index*bytes (lo)
_v_addc_co_u32 v121, vcc, v99, v105, vcc           // addrVgpr = D + index*bytes (hi)
s_mov_b64 exec, -1                                 // full mask -1 -> exec
/* (d1,vc1,d0,vc0)=(13,0,0,0) */
_v_add_co_u32 v97, vcc, v97, 4                     // coord1.1: coord1Vgpr += d1*sg1*VW + vc1
GLOBAL_OFFSET_C 126, 96, 97, 104
v_mov_b32 v104, v126                               // temp store offset 0
v_mov_b32 v105, v127                               // temp store offset 1
v_cmp_lt_u32 s[46:47], v96, s[sgprSizesFree+0]     // coord0 < size0
v_cmp_lt_u32 s[48:49], v97, s[sgprSizesFree+1]     // coord1 < size1
s_and_b64 s[56:57], s[46:47], s[48:49]             // in0 && in1
s_mov_b64 exec, s[56:57]                           // sgprs -> exec
_v_add_co_u32 v126, vcc, v100, v104                // addrVgpr = C + index*bytes (lo)
_v_addc_co_u32 v127, vcc, v101, v105, vcc          // addrVgpr = C + index*bytes (hi)
_global_load_b64 v[128:129], v[126:127], off, offset:0,  glc slc // load C for beta calc
GLOBAL_OFFSET_D 126, 96, 97, 104
v_mov_b32 v104, v126                               // temp store offset 0
v_mov_b32 v105, v127                               // temp store offset 1
v_cmp_lt_u32 s[46:47], v96, s[sgprSizesFree+0]     // coord0 < size0
v_cmp_lt_u32 s[48:49], v97, s[sgprSizesFree+1]     // coord1 < size1
s_and_b64 s[56:57], s[46:47], s[48:49]             // in0 && in1
s_mov_b64 exec, s[56:57]                           // sgprs -> exec
_v_add_co_u32 v126, vcc, v98, v104                 // addrVgpr = D + index*bytes (lo)
_v_addc_co_u32 v127, vcc, v99, v105, vcc           // addrVgpr = D + index*bytes (hi)
s_mov_b64 exec, -1                                 // full mask -1 -> exec
	;; [unrolled: 44-line block ×11, first 2 shown]
/* (d1,vc1,d0,vc0)=(22,0,0,1) */
_v_add_co_u32 v102, vcc, v96, 1                    // coord0.1: coord0 += d0*sg0*VW + vc0
GLOBAL_OFFSET_C 244, 102, 97, 104
v_mov_b32 v104, v244                               // temp store offset 0
v_mov_b32 v105, v245                               // temp store offset 1
v_cmp_lt_u32 s[46:47], v102, s[sgprSizesFree+0]    // coord0 < size0
v_cmp_lt_u32 s[48:49], v97, s[sgprSizesFree+1]     // coord1 < size1
s_and_b64 s[94:95], s[46:47], s[48:49]             // in0 && in1
s_mov_b64 exec, s[94:95]                           // sgprs -> exec
_v_add_co_u32 v244, vcc, v100, v104                // addrVgpr = C + index*bytes (lo)
_v_addc_co_u32 v245, vcc, v101, v105, vcc          // addrVgpr = C + index*bytes (hi)
_global_load_b64 v[246:247], v[244:245], off, offset:0,  glc slc // load C for beta calc
GLOBAL_OFFSET_D 244, 102, 97, 104
v_mov_b32 v104, v244                               // temp store offset 0
v_mov_b32 v105, v245                               // temp store offset 1
v_cmp_lt_u32 s[46:47], v102, s[sgprSizesFree+0]    // coord0 < size0
v_cmp_lt_u32 s[48:49], v97, s[sgprSizesFree+1]     // coord1 < size1
s_and_b64 s[94:95], s[46:47], s[48:49]             // in0 && in1
s_mov_b64 exec, s[94:95]                           // sgprs -> exec
_v_add_co_u32 v244, vcc, v98, v104                 // addrVgpr = D + index*bytes (lo)
_v_addc_co_u32 v245, vcc, v99, v105, vcc           // addrVgpr = D + index*bytes (hi)
s_mov_b64 exec, -1                                 // full mask -1 -> exec
s_sleep 7 // optimization: sync and wait
s_barrier
s_waitcnt vmcnt(0)                                 // wait C

/* apply mask, calc new C and issue writes */
s_mov_b64 exec, s[50:51]                           // sgprs -> exec
v_fma_f64 v[vgprValuC+112:vgprValuC+112+1], v[110:111], s[sgprBeta:sgprBeta+1], v[vgprValuC+112:vgprValuC+112+1] // finalSum = sum*alpha + C*beta
_global_store_b64 v[108:109], v[112:113], off,  glc slc // store D
s_mov_b64 exec, s[52:53]                           // sgprs -> exec
v_fma_f64 v[vgprValuC+118:vgprValuC+118+1], v[116:117], s[sgprBeta:sgprBeta+1], v[vgprValuC+118:vgprValuC+118+1] // finalSum = sum*alpha + C*beta
_global_store_b64 v[114:115], v[118:119], off,  glc slc // store D
	;; [unrolled: 3-line block ×23, first 2 shown]
s_mov_b64 exec, -1                                 // full mask -> exec
s_nop 0                                            // 1 wait state required when next inst writes vgprs held by previous dwordx4 store inst
/* optSingleColVgpr=0 optSharedColVgpr=0 optSGPRUsage=None optSrdIncForRow=0 */
s_sleep 7 // optimization: sync and wait
s_barrier

/******************************************/
/* Global Write Alpha Beta Edge Batch #2 (d1,d0,vc1,vc0) = */
/*    (23,0,0,0:vw1); (23,0,0,1:vw1)      */
/******************************************/

/* calc coords, apply mask, and issue loads (if necessary) */

/* rC *= alpha batchElements=[(23, 0, 0, 0), (23, 0, 0, 1)] */
v_mul_f64 v[vgprValuC+112:vgprValuC+112+1], s[sgprAlpha:sgprAlpha+1], v[vgprValuC+86:vgprValuC+86+1] // Multiply MI out reg with alpha
v_mul_f64 v[vgprValuC+118:vgprValuC+118+1], s[sgprAlpha:sgprAlpha+1], v[vgprValuC+94:vgprValuC+94+1] // Multiply MI out reg with alpha
/* (d1,vc1,d0,vc0)=(23,0,0,0) */
_v_add_co_u32 v97, vcc, v97, 4                     // coord1.1: coord1Vgpr += d1*sg1*VW + vc1
GLOBAL_OFFSET_C 108, 96, 97, 104
v_mov_b32 v104, v108                               // temp store offset 0
v_mov_b32 v105, v109                               // temp store offset 1
v_cmp_lt_u32 s[46:47], v96, s[sgprSizesFree+0]     // coord0 < size0
v_cmp_lt_u32 s[48:49], v97, s[sgprSizesFree+1]     // coord1 < size1
s_and_b64 s[50:51], s[46:47], s[48:49]             // in0 && in1
s_mov_b64 exec, s[50:51]                           // sgprs -> exec
_v_add_co_u32 v108, vcc, v100, v104                // addrVgpr = C + index*bytes (lo)
_v_addc_co_u32 v109, vcc, v101, v105, vcc          // addrVgpr = C + index*bytes (hi)
_global_load_b64 v[110:111], v[108:109], off, offset:0,  glc slc // load C for beta calc
GLOBAL_OFFSET_D 108, 96, 97, 104
v_mov_b32 v104, v108                               // temp store offset 0
v_mov_b32 v105, v109                               // temp store offset 1
v_cmp_lt_u32 s[46:47], v96, s[sgprSizesFree+0]     // coord0 < size0
v_cmp_lt_u32 s[48:49], v97, s[sgprSizesFree+1]     // coord1 < size1
s_and_b64 s[50:51], s[46:47], s[48:49]             // in0 && in1
s_mov_b64 exec, s[50:51]                           // sgprs -> exec
_v_add_co_u32 v108, vcc, v98, v104                 // addrVgpr = D + index*bytes (lo)
_v_addc_co_u32 v109, vcc, v99, v105, vcc           // addrVgpr = D + index*bytes (hi)
s_mov_b64 exec, -1                                 // full mask -1 -> exec
/* (d1,vc1,d0,vc0)=(23,0,0,1) */
_v_add_co_u32 v102, vcc, v96, 1                    // coord0.1: coord0 += d0*sg0*VW + vc0
GLOBAL_OFFSET_C 114, 102, 97, 104
v_mov_b32 v104, v114                               // temp store offset 0
v_mov_b32 v105, v115                               // temp store offset 1
v_cmp_lt_u32 s[46:47], v102, s[sgprSizesFree+0]    // coord0 < size0
v_cmp_lt_u32 s[48:49], v97, s[sgprSizesFree+1]     // coord1 < size1
s_and_b64 s[52:53], s[46:47], s[48:49]             // in0 && in1
s_mov_b64 exec, s[52:53]                           // sgprs -> exec
_v_add_co_u32 v114, vcc, v100, v104                // addrVgpr = C + index*bytes (lo)
_v_addc_co_u32 v115, vcc, v101, v105, vcc          // addrVgpr = C + index*bytes (hi)
_global_load_b64 v[116:117], v[114:115], off, offset:0,  glc slc // load C for beta calc
GLOBAL_OFFSET_D 114, 102, 97, 104
v_mov_b32 v104, v114                               // temp store offset 0
v_mov_b32 v105, v115                               // temp store offset 1
v_cmp_lt_u32 s[46:47], v102, s[sgprSizesFree+0]    // coord0 < size0
v_cmp_lt_u32 s[48:49], v97, s[sgprSizesFree+1]     // coord1 < size1
s_and_b64 s[52:53], s[46:47], s[48:49]             // in0 && in1
s_mov_b64 exec, s[52:53]                           // sgprs -> exec
_v_add_co_u32 v114, vcc, v98, v104                 // addrVgpr = D + index*bytes (lo)
_v_addc_co_u32 v115, vcc, v99, v105, vcc           // addrVgpr = D + index*bytes (hi)
s_mov_b64 exec, -1                                 // full mask -1 -> exec
s_sleep 7 // optimization: sync and wait
s_barrier
s_waitcnt vmcnt(0)                                 // wait C

/* apply mask, calc new C and issue writes */
s_mov_b64 exec, s[50:51]                           // sgprs -> exec
v_fma_f64 v[vgprValuC+112:vgprValuC+112+1], v[110:111], s[sgprBeta:sgprBeta+1], v[vgprValuC+112:vgprValuC+112+1] // finalSum = sum*alpha + C*beta
_global_store_b64 v[108:109], v[112:113], off,  glc slc // store D
s_mov_b64 exec, s[52:53]                           // sgprs -> exec
v_fma_f64 v[vgprValuC+118:vgprValuC+118+1], v[116:117], s[sgprBeta:sgprBeta+1], v[vgprValuC+118:vgprValuC+118+1] // finalSum = sum*alpha + C*beta
_global_store_b64 v[114:115], v[118:119], off,  glc slc // store D
s_mov_b64 exec, -1                                 // full mask -> exec
s_nop 0                                            // 1 wait state required when next inst writes vgprs held by previous dwordx4 store inst
s_branch label_GW_End_34                           // jump to end
label_GW_End_34:

label_0039:  /// KernelEnd
s_endpgm                                           // Kernel End

